;; amdgpu-corpus repo=ROCm/rocFFT kind=compiled arch=gfx950 opt=O3
	.text
	.amdgcn_target "amdgcn-amd-amdhsa--gfx950"
	.amdhsa_code_object_version 6
	.protected	bluestein_single_back_len484_dim1_sp_op_CI_CI ; -- Begin function bluestein_single_back_len484_dim1_sp_op_CI_CI
	.globl	bluestein_single_back_len484_dim1_sp_op_CI_CI
	.p2align	8
	.type	bluestein_single_back_len484_dim1_sp_op_CI_CI,@function
bluestein_single_back_len484_dim1_sp_op_CI_CI: ; @bluestein_single_back_len484_dim1_sp_op_CI_CI
; %bb.0:
	s_load_dwordx4 s[8:11], s[0:1], 0x28
	v_mul_u32_u24_e32 v1, 0x5d2, v0
	v_mov_b32_e32 v69, 0
	v_add_u32_sdwa v78, s2, v1 dst_sel:DWORD dst_unused:UNUSED_PAD src0_sel:DWORD src1_sel:WORD_1
	v_mov_b32_e32 v79, v69
	s_waitcnt lgkmcnt(0)
	v_cmp_gt_u64_e32 vcc, s[8:9], v[78:79]
	s_and_saveexec_b64 s[2:3], vcc
	s_cbranch_execz .LBB0_15
; %bb.1:
	s_load_dwordx4 s[4:7], s[0:1], 0x18
	s_load_dwordx2 s[12:13], s[0:1], 0x0
	v_mov_b32_e32 v2, s10
	v_mov_b32_e32 v3, s11
	;; [unrolled: 1-line block ×3, first 2 shown]
	s_waitcnt lgkmcnt(0)
	s_load_dwordx4 s[8:11], s[4:5], 0x0
	v_mul_lo_u16_sdwa v1, v1, v4 dst_sel:DWORD dst_unused:UNUSED_PAD src0_sel:WORD_1 src1_sel:DWORD
	v_sub_u16_e32 v68, v0, v1
	v_lshlrev_b32_e32 v64, 3, v68
	global_load_dwordx2 v[86:87], v64, s[12:13]
	global_load_dwordx2 v[84:85], v64, s[12:13] offset:968
	s_waitcnt lgkmcnt(0)
	v_mad_u64_u32 v[0:1], s[2:3], s10, v78, 0
	v_mov_b32_e32 v4, v1
	v_mad_u64_u32 v[4:5], s[2:3], s11, v78, v[4:5]
	v_mov_b32_e32 v1, v4
	;; [unrolled: 2-line block ×3, first 2 shown]
	v_mad_u64_u32 v[6:7], s[2:3], s9, v68, v[6:7]
	s_mul_i32 s2, s9, 0x79
	s_mul_hi_u32 s3, s8, 0x79
	v_mov_b32_e32 v5, v6
	v_lshl_add_u64 v[0:1], v[0:1], 3, v[2:3]
	s_add_i32 s3, s3, s2
	s_mul_i32 s2, s8, 0x79
	v_lshl_add_u64 v[0:1], v[4:5], 3, v[0:1]
	s_lshl_b64 s[10:11], s[2:3], 3
	global_load_dwordx2 v[2:3], v[0:1], off
	v_lshl_add_u64 v[0:1], v[0:1], 0, s[10:11]
	s_mul_hi_u32 s3, s8, 0xfffffec1
	v_lshl_add_u64 v[4:5], v[0:1], 0, s[10:11]
	s_mul_i32 s2, s9, 0xfffffec1
	s_sub_i32 s3, s3, s8
	global_load_dwordx2 v[6:7], v[0:1], off
	global_load_dwordx2 v[80:81], v64, s[12:13] offset:1936
	v_lshl_add_u64 v[0:1], v[4:5], 0, s[10:11]
	s_add_i32 s9, s3, s2
	s_mulk_i32 s8, 0xfec1
	global_load_dwordx2 v[8:9], v[4:5], off
	global_load_dwordx2 v[10:11], v[0:1], off
	global_load_dwordx2 v[74:75], v64, s[12:13] offset:2904
	v_lshl_add_u64 v[0:1], s[8:9], 3, v[0:1]
	global_load_dwordx2 v[4:5], v[0:1], off
	global_load_dwordx2 v[72:73], v64, s[12:13] offset:1320
	global_load_dwordx2 v[82:83], v64, s[12:13] offset:352
	v_lshl_add_u64 v[0:1], v[0:1], 0, s[10:11]
	global_load_dwordx2 v[12:13], v[0:1], off
	v_lshl_add_u64 v[0:1], v[0:1], 0, s[10:11]
	global_load_dwordx2 v[14:15], v[0:1], off
	global_load_dwordx2 v[70:71], v64, s[12:13] offset:3256
	global_load_dwordx2 v[76:77], v64, s[12:13] offset:2288
	v_lshl_add_u64 v[0:1], v[0:1], 0, s[10:11]
	global_load_dwordx2 v[16:17], v[0:1], off
	s_load_dwordx2 s[2:3], s[0:1], 0x38
	v_mov_b32_e32 v65, v69
	s_load_dwordx4 s[4:7], s[6:7], 0x0
	v_lshl_add_u64 v[66:67], s[12:13], 0, v[64:65]
	v_cmp_gt_u16_e32 vcc, 33, v68
	s_waitcnt vmcnt(13)
	v_mul_f32_e32 v18, v3, v87
	v_mul_f32_e32 v19, v2, v87
	v_fmac_f32_e32 v18, v2, v86
	v_fma_f32 v19, v3, v86, -v19
	s_waitcnt vmcnt(12)
	v_mul_f32_e32 v2, v7, v85
	v_mul_f32_e32 v3, v6, v85
	v_fmac_f32_e32 v2, v6, v84
	v_fma_f32 v3, v7, v84, -v3
	s_waitcnt vmcnt(10)
	v_mul_f32_e32 v6, v9, v81
	v_mul_f32_e32 v7, v8, v81
	ds_write_b64 v64, v[2:3] offset:968
	s_waitcnt vmcnt(8)
	v_mul_f32_e32 v2, v11, v75
	v_mul_f32_e32 v3, v10, v75
	v_fmac_f32_e32 v6, v8, v80
	v_fma_f32 v7, v9, v80, -v7
	v_fmac_f32_e32 v2, v10, v74
	v_fma_f32 v3, v11, v74, -v3
	ds_write_b64 v64, v[6:7] offset:1936
	s_waitcnt vmcnt(5)
	v_mul_f32_e32 v6, v5, v83
	v_mul_f32_e32 v7, v4, v83
	ds_write_b64 v64, v[2:3] offset:2904
	s_waitcnt vmcnt(4)
	v_mul_f32_e32 v2, v13, v73
	v_mul_f32_e32 v3, v12, v73
	v_fmac_f32_e32 v6, v4, v82
	v_fma_f32 v7, v5, v82, -v7
	v_fmac_f32_e32 v2, v12, v72
	v_fma_f32 v3, v13, v72, -v3
	ds_write2_b64 v64, v[18:19], v[6:7] offset1:44
	s_waitcnt vmcnt(1)
	v_mul_f32_e32 v4, v15, v77
	v_mul_f32_e32 v5, v14, v77
	ds_write_b64 v64, v[2:3] offset:1320
	s_waitcnt vmcnt(0)
	v_mul_f32_e32 v2, v17, v71
	v_mul_f32_e32 v3, v16, v71
	v_fmac_f32_e32 v4, v14, v76
	v_fma_f32 v5, v15, v76, -v5
	v_fmac_f32_e32 v2, v16, v70
	v_fma_f32 v3, v17, v70, -v3
	ds_write_b64 v64, v[4:5] offset:2288
	ds_write_b64 v64, v[2:3] offset:3256
	s_and_saveexec_b64 s[14:15], vcc
	s_cbranch_execz .LBB0_3
; %bb.2:
	v_lshl_add_u64 v[0:1], s[8:9], 3, v[0:1]
	global_load_dwordx2 v[2:3], v[0:1], off
	global_load_dwordx2 v[4:5], v[66:67], off offset:704
	v_lshl_add_u64 v[0:1], v[0:1], 0, s[10:11]
	global_load_dwordx2 v[6:7], v[0:1], off
	global_load_dwordx2 v[8:9], v[66:67], off offset:1672
	;; [unrolled: 3-line block ×3, first 2 shown]
	global_load_dwordx2 v[14:15], v[66:67], off offset:3608
	v_lshl_add_u64 v[0:1], v[0:1], 0, s[10:11]
	global_load_dwordx2 v[0:1], v[0:1], off
	s_waitcnt vmcnt(6)
	v_mul_f32_e32 v16, v3, v5
	v_mul_f32_e32 v5, v2, v5
	v_fmac_f32_e32 v16, v2, v4
	v_fma_f32 v17, v3, v4, -v5
	s_waitcnt vmcnt(4)
	v_mul_f32_e32 v2, v7, v9
	v_mul_f32_e32 v3, v6, v9
	v_fmac_f32_e32 v2, v6, v8
	v_fma_f32 v3, v7, v8, -v3
	s_waitcnt vmcnt(2)
	v_mul_f32_e32 v4, v11, v13
	v_mul_f32_e32 v5, v10, v13
	ds_write2_b64 v64, v[16:17], v[2:3] offset0:88 offset1:209
	s_waitcnt vmcnt(0)
	v_mul_f32_e32 v2, v1, v15
	v_mul_f32_e32 v3, v0, v15
	v_fmac_f32_e32 v4, v10, v12
	v_fma_f32 v5, v11, v12, -v5
	v_fmac_f32_e32 v2, v0, v14
	v_fma_f32 v3, v1, v14, -v3
	v_add_u32_e32 v0, 0x800, v64
	ds_write2_b64 v0, v[4:5], v[2:3] offset0:74 offset1:195
.LBB0_3:
	s_or_b64 exec, exec, s[14:15]
	v_add_u32_e32 v0, 0x400, v64
	v_add_u32_e32 v21, 0x800, v64
	s_load_dwordx2 s[24:25], s[0:1], 0x8
	s_waitcnt lgkmcnt(0)
	; wave barrier
	s_waitcnt lgkmcnt(0)
	ds_read2_b64 v[4:7], v64 offset1:44
	ds_read2_b64 v[8:11], v64 offset0:121 offset1:165
	ds_read2_b64 v[12:15], v0 offset0:114 offset1:158
	;; [unrolled: 1-line block ×3, first 2 shown]
                                        ; implicit-def: $vgpr24
                                        ; implicit-def: $vgpr26
                                        ; implicit-def: $vgpr0
                                        ; implicit-def: $vgpr20
	s_and_saveexec_b64 s[0:1], vcc
	s_cbranch_execz .LBB0_5
; %bb.4:
	ds_read2_b64 v[0:3], v64 offset0:88 offset1:209
	ds_read2_b64 v[20:23], v21 offset0:74 offset1:195
	s_waitcnt lgkmcnt(1)
	v_mov_b32_e32 v24, v0
	v_mov_b32_e32 v25, v2
	s_waitcnt lgkmcnt(0)
	v_mov_b32_e32 v26, v20
	v_mov_b32_e32 v27, v22
	;; [unrolled: 1-line block ×4, first 2 shown]
.LBB0_5:
	s_or_b64 exec, exec, s[0:1]
	s_waitcnt lgkmcnt(1)
	v_pk_add_f32 v[22:23], v[4:5], v[12:13] neg_lo:[0,1] neg_hi:[0,1]
	v_pk_add_f32 v[32:33], v[6:7], v[14:15] neg_lo:[0,1] neg_hi:[0,1]
	;; [unrolled: 1-line block ×4, first 2 shown]
	s_waitcnt lgkmcnt(0)
	v_pk_add_f32 v[30:31], v[8:9], v[16:17] neg_lo:[0,1] neg_hi:[0,1]
	v_pk_add_f32 v[16:17], v[12:13], v[14:15]
	s_mov_b64 s[0:1], 0x58
	v_pk_add_f32 v[2:3], v[12:13], v[14:15] neg_lo:[0,1] neg_hi:[0,1]
	v_lshlrev_b16_e32 v16, 2, v68
	v_pk_fma_f32 v[4:5], v[4:5], 2.0, v[22:23] op_sel_hi:[1,0,1] neg_lo:[0,0,1] neg_hi:[0,0,1]
	v_pk_fma_f32 v[8:9], v[8:9], 2.0, v[30:31] op_sel_hi:[1,0,1] neg_lo:[0,0,1] neg_hi:[0,0,1]
	v_lshl_add_u64 v[28:29], v[68:69], 0, s[0:1]
	v_mov_b32_e32 v3, v17
	v_lshlrev_b32_e32 v69, 3, v16
	v_pk_add_f32 v[16:17], v[4:5], v[8:9] neg_lo:[0,1] neg_hi:[0,1]
	v_pk_add_f32 v[34:35], v[10:11], v[18:19] neg_lo:[0,1] neg_hi:[0,1]
	v_pk_fma_f32 v[20:21], v[4:5], 2.0, v[16:17] op_sel_hi:[1,0,1] neg_lo:[0,0,1] neg_hi:[0,0,1]
	v_pk_add_f32 v[18:19], v[22:23], v[30:31] op_sel:[0,1] op_sel_hi:[1,0] neg_lo:[0,1] neg_hi:[0,1]
	v_pk_add_f32 v[4:5], v[22:23], v[30:31] op_sel:[0,1] op_sel_hi:[1,0]
	v_pk_fma_f32 v[6:7], v[6:7], 2.0, v[32:33] op_sel_hi:[1,0,1] neg_lo:[0,0,1] neg_hi:[0,0,1]
	v_mov_b32_e32 v19, v5
	v_pk_fma_f32 v[4:5], v[10:11], 2.0, v[34:35] op_sel_hi:[1,0,1] neg_lo:[0,0,1] neg_hi:[0,0,1]
	v_pk_fma_f32 v[22:23], v[22:23], 2.0, v[18:19] op_sel_hi:[1,0,1] neg_lo:[0,0,1] neg_hi:[0,0,1]
	v_pk_add_f32 v[4:5], v[6:7], v[4:5] neg_lo:[0,1] neg_hi:[0,1]
	s_waitcnt lgkmcnt(0)
	; wave barrier
	ds_write_b128 v69, v[20:23]
	ds_write_b128 v69, v[16:19] offset:16
	v_pk_fma_f32 v[8:9], v[6:7], 2.0, v[4:5] op_sel_hi:[1,0,1] neg_lo:[0,0,1] neg_hi:[0,0,1]
	v_pk_add_f32 v[6:7], v[32:33], v[34:35] op_sel:[0,1] op_sel_hi:[1,0] neg_lo:[0,1] neg_hi:[0,1]
	v_pk_add_f32 v[16:17], v[32:33], v[34:35] op_sel:[0,1] op_sel_hi:[1,0]
	v_lshlrev_b32_e32 v98, 5, v68
	v_mov_b32_e32 v7, v17
	v_pk_fma_f32 v[10:11], v[32:33], 2.0, v[6:7] op_sel_hi:[1,0,1] neg_lo:[0,0,1] neg_hi:[0,0,1]
	v_lshlrev_b32_e32 v65, 5, v28
	ds_write_b128 v98, v[8:11] offset:1408
	ds_write_b128 v98, v[4:7] offset:1424
	s_and_saveexec_b64 s[0:1], vcc
	s_cbranch_execz .LBB0_7
; %bb.6:
	v_mov_b32_e32 v4, v24
	v_mov_b32_e32 v5, v1
	;; [unrolled: 1-line block ×8, first 2 shown]
	v_pk_fma_f32 v[4:5], v[4:5], 2.0, v[6:7] op_sel_hi:[1,0,1] neg_lo:[0,0,1] neg_hi:[0,0,1]
	v_pk_fma_f32 v[0:1], v[8:9], 2.0, v[0:1] op_sel_hi:[1,0,1] neg_lo:[0,0,1] neg_hi:[0,0,1]
	;; [unrolled: 1-line block ×3, first 2 shown]
	v_pk_add_f32 v[0:1], v[4:5], v[0:1] neg_lo:[0,1] neg_hi:[0,1]
	s_nop 0
	v_pk_fma_f32 v[4:5], v[4:5], 2.0, v[0:1] op_sel_hi:[1,0,1] neg_lo:[0,0,1] neg_hi:[0,0,1]
	ds_write_b128 v65, v[4:7]
	ds_write_b128 v65, v[0:3] offset:16
.LBB0_7:
	s_or_b64 exec, exec, s[0:1]
	v_and_b32_e32 v79, 3, v68
	v_mul_u32_u24_e32 v0, 10, v79
	v_lshlrev_b32_e32 v0, 3, v0
	s_waitcnt lgkmcnt(0)
	; wave barrier
	s_waitcnt lgkmcnt(0)
	global_load_dwordx4 v[4:7], v0, s[24:25]
	global_load_dwordx4 v[16:19], v0, s[24:25] offset:16
	global_load_dwordx4 v[12:15], v0, s[24:25] offset:32
	;; [unrolled: 1-line block ×4, first 2 shown]
	ds_read2_b64 v[28:31], v64 offset0:88 offset1:132
	ds_read2_b64 v[32:35], v64 offset0:176 offset1:220
	v_add_u32_e32 v99, 0x800, v64
	ds_read_b64 v[0:1], v64 offset:3520
	ds_read2_b64 v[24:27], v64 offset1:44
	ds_read2_b64 v[36:39], v99 offset0:8 offset1:52
	ds_read2_b64 v[40:43], v99 offset0:96 offset1:140
	s_mov_b32 s10, 0xbf0a6770
	s_mov_b32 s11, 0x3f575c64
	;; [unrolled: 1-line block ×20, first 2 shown]
	s_waitcnt lgkmcnt(0)
	; wave barrier
	s_waitcnt lgkmcnt(0)
	s_mov_b32 s40, 0x3e903f40
	s_mov_b32 s34, s15
	;; [unrolled: 1-line block ×13, first 2 shown]
	s_movk_i32 s33, 0x50
	s_mov_b32 s46, s15
	s_waitcnt vmcnt(4)
	v_mov_b32_e32 v44, v7
	s_waitcnt vmcnt(3)
	v_pk_mul_f32 v[46:47], v[30:31], v[16:17] op_sel:[0,1]
	v_mov_b32_e32 v48, v19
	s_waitcnt vmcnt(2)
	v_pk_mul_f32 v[50:51], v[34:35], v[12:13] op_sel:[0,1]
	v_mov_b32_e32 v52, v15
	s_waitcnt vmcnt(1)
	v_pk_mul_f32 v[54:55], v[38:39], v[8:9] op_sel:[0,1]
	v_mov_b32_e32 v56, v11
	s_waitcnt vmcnt(0)
	v_pk_mul_f32 v[58:59], v[42:43], v[20:21] op_sel:[0,1]
	v_mov_b32_e32 v60, v23
	v_mov_b32_e32 v62, v5
	v_pk_mul_f32 v[88:89], v[26:27], v[4:5] op_sel:[1,0] op_sel_hi:[0,1]
	v_pk_fma_f32 v[90:91], v[30:31], v[16:17], v[46:47] op_sel:[0,0,1] op_sel_hi:[1,1,0] neg_lo:[0,0,1] neg_hi:[0,0,1]
	v_pk_fma_f32 v[30:31], v[30:31], v[16:17], v[46:47] op_sel:[0,0,1] op_sel_hi:[1,0,0]
	v_pk_mul_f32 v[44:45], v[28:29], v[44:45] op_sel_hi:[1,0]
	v_pk_mul_f32 v[46:47], v[32:33], v[48:49] op_sel_hi:[1,0]
	v_pk_fma_f32 v[48:49], v[34:35], v[12:13], v[50:51] op_sel:[0,0,1] op_sel_hi:[1,1,0] neg_lo:[0,0,1] neg_hi:[0,0,1]
	v_pk_fma_f32 v[34:35], v[34:35], v[12:13], v[50:51] op_sel:[0,0,1] op_sel_hi:[1,0,0]
	v_pk_mul_f32 v[50:51], v[36:37], v[52:53] op_sel_hi:[1,0]
	v_pk_fma_f32 v[92:93], v[38:39], v[8:9], v[54:55] op_sel:[0,0,1] op_sel_hi:[1,1,0] neg_lo:[0,0,1] neg_hi:[0,0,1]
	v_pk_fma_f32 v[38:39], v[38:39], v[8:9], v[54:55] op_sel:[0,0,1] op_sel_hi:[1,0,0]
	v_pk_mul_f32 v[52:53], v[40:41], v[56:57] op_sel_hi:[1,0]
	v_pk_fma_f32 v[54:55], v[42:43], v[20:21], v[58:59] op_sel:[0,0,1] op_sel_hi:[1,1,0] neg_lo:[0,0,1] neg_hi:[0,0,1]
	v_pk_fma_f32 v[42:43], v[42:43], v[20:21], v[58:59] op_sel:[0,0,1] op_sel_hi:[1,0,0]
	v_pk_mul_f32 v[56:57], v[0:1], v[60:61] op_sel_hi:[1,0]
	v_pk_mul_f32 v[58:59], v[26:27], v[62:63] op_sel:[1,0] op_sel_hi:[0,1]
	v_mov_b32_e32 v30, v89
	v_pk_fma_f32 v[60:61], v[28:29], v[6:7], v[44:45] op_sel:[0,0,1] op_sel_hi:[1,1,0] neg_lo:[0,0,1] neg_hi:[0,0,1]
	v_pk_fma_f32 v[28:29], v[28:29], v[6:7], v[44:45] op_sel:[0,0,1] op_sel_hi:[1,0,0]
	v_pk_fma_f32 v[44:45], v[32:33], v[18:19], v[46:47] op_sel:[0,0,1] op_sel_hi:[1,1,0] neg_lo:[0,0,1] neg_hi:[0,0,1]
	v_pk_fma_f32 v[32:33], v[32:33], v[18:19], v[46:47] op_sel:[0,0,1] op_sel_hi:[1,0,0]
	v_mov_b32_e32 v49, v35
	v_mov_b32_e32 v93, v39
	v_pk_fma_f32 v[34:35], v[0:1], v[22:23], v[56:57] op_sel:[0,0,1] op_sel_hi:[1,0,0] neg_lo:[0,0,1] neg_hi:[0,0,1]
	v_pk_fma_f32 v[0:1], v[0:1], v[22:23], v[56:57] op_sel:[0,0,1] op_sel_hi:[1,0,0]
	v_pk_fma_f32 v[38:39], v[26:27], v[4:5], v[58:59] neg_lo:[0,0,1] neg_hi:[0,0,1]
	v_pk_fma_f32 v[26:27], v[26:27], v[4:5], v[30:31] op_sel:[1,0,0] op_sel_hi:[0,1,1]
	v_pk_fma_f32 v[46:47], v[36:37], v[14:15], v[50:51] op_sel:[0,0,1] op_sel_hi:[1,1,0] neg_lo:[0,0,1] neg_hi:[0,0,1]
	v_pk_fma_f32 v[36:37], v[36:37], v[14:15], v[50:51] op_sel:[0,0,1] op_sel_hi:[1,0,0]
	v_mov_b32_e32 v91, v31
	v_pk_add_f32 v[50:51], v[38:39], v[34:35]
	v_pk_add_f32 v[30:31], v[38:39], v[34:35] neg_lo:[0,1] neg_hi:[0,1]
	v_mov_b32_e32 v39, v26
	v_mov_b32_e32 v32, v1
	v_pk_fma_f32 v[62:63], v[40:41], v[10:11], v[52:53] op_sel:[0,0,1] op_sel_hi:[1,1,0] neg_lo:[0,0,1] neg_hi:[0,0,1]
	v_pk_fma_f32 v[40:41], v[40:41], v[10:11], v[52:53] op_sel:[0,0,1] op_sel_hi:[1,0,0]
	v_mov_b32_e32 v55, v43
	v_mov_b32_e32 v61, v29
	;; [unrolled: 1-line block ×3, first 2 shown]
	v_pk_add_f32 v[52:53], v[26:27], v[32:33] neg_lo:[0,1] neg_hi:[0,1]
	v_pk_add_f32 v[26:27], v[24:25], v[38:39]
	v_mov_b32_e32 v45, v33
	v_mov_b32_e32 v29, v1
	v_pk_add_f32 v[0:1], v[30:31], v[0:1]
	v_mov_b32_e32 v51, v30
	v_pk_add_f32 v[58:59], v[60:61], v[54:55]
	v_pk_add_f32 v[30:31], v[60:61], v[54:55] neg_lo:[0,1] neg_hi:[0,1]
	v_pk_add_f32 v[32:33], v[26:27], v[60:61]
	v_mov_b32_e32 v26, v31
	v_mov_b32_e32 v27, v59
	;; [unrolled: 1-line block ×3, first 2 shown]
	v_pk_add_f32 v[30:31], v[32:33], v[90:91]
	v_mov_b32_e32 v47, v37
	v_pk_add_f32 v[30:31], v[30:31], v[44:45]
	v_mov_b32_e32 v63, v41
	;; [unrolled: 2-line block ×4, first 2 shown]
	v_pk_add_f32 v[30:31], v[30:31], v[92:93]
	v_pk_mul_f32 v[34:35], v[58:59], s[30:31]
	v_pk_add_f32 v[30:31], v[30:31], v[62:63]
	v_pk_fma_f32 v[40:41], v[26:27], s[28:29], v[34:35] neg_lo:[1,0,0] neg_hi:[1,0,0]
	v_pk_add_f32 v[30:31], v[30:31], v[54:55]
	v_pk_add_f32 v[100:101], v[90:91], v[62:63]
	;; [unrolled: 1-line block ×3, first 2 shown]
	v_pk_mul_f32 v[30:31], v[50:51], s[42:43]
	v_pk_add_f32 v[38:39], v[90:91], v[62:63] neg_lo:[0,1] neg_hi:[0,1]
	v_pk_fma_f32 v[32:33], v[52:53], s[10:11], v[30:31] neg_lo:[1,0,0] neg_hi:[1,0,0]
	v_pk_fma_f32 v[28:29], v[0:1], s[10:11], v[30:31]
	v_pk_add_f32 v[94:95], v[44:45], v[92:93]
	v_mov_b32_e32 v33, v29
	v_pk_add_f32 v[36:37], v[24:25], v[32:33]
	v_pk_fma_f32 v[32:33], v[26:27], s[28:29], v[34:35]
	v_pk_add_f32 v[96:97], v[44:45], v[92:93] neg_lo:[0,1] neg_hi:[0,1]
	v_mov_b32_e32 v41, v33
	v_pk_add_f32 v[42:43], v[40:41], v[36:37]
	v_mov_b32_e32 v37, v101
	v_mov_b32_e32 v101, v38
	;; [unrolled: 1-line block ×3, first 2 shown]
	v_pk_mul_f32 v[40:41], v[100:101], s[38:39]
	v_pk_add_f32 v[88:89], v[48:49], v[46:47]
	v_pk_fma_f32 v[44:45], v[36:37], s[8:9], v[40:41] neg_lo:[1,0,0] neg_hi:[1,0,0]
	v_pk_fma_f32 v[38:39], v[36:37], s[8:9], v[40:41]
	v_pk_add_f32 v[56:57], v[48:49], v[46:47] neg_lo:[0,1] neg_hi:[0,1]
	v_mov_b32_e32 v45, v39
	v_pk_add_f32 v[48:49], v[44:45], v[42:43]
	v_mov_b32_e32 v43, v95
	v_mov_b32_e32 v95, v96
	;; [unrolled: 1-line block ×3, first 2 shown]
	v_pk_mul_f32 v[46:47], v[94:95], s[22:23]
	v_lshrrev_b32_e32 v29, 2, v68
	v_pk_fma_f32 v[54:55], v[42:43], s[0:1], v[46:47] neg_lo:[1,0,0] neg_hi:[1,0,0]
	v_pk_fma_f32 v[44:45], v[42:43], s[0:1], v[46:47]
	v_mul_u32_u24_e32 v29, 44, v29
	v_mov_b32_e32 v55, v45
	v_pk_add_f32 v[62:63], v[54:55], v[48:49]
	v_mov_b32_e32 v49, v89
	v_mov_b32_e32 v89, v56
	;; [unrolled: 1-line block ×3, first 2 shown]
	v_pk_mul_f32 v[56:57], v[88:89], s[20:21]
	v_or_b32_e32 v29, v29, v79
	v_pk_fma_f32 v[90:91], v[48:49], s[14:15], v[56:57] neg_lo:[1,0,0] neg_hi:[1,0,0]
	v_pk_fma_f32 v[54:55], v[48:49], s[14:15], v[56:57]
	v_lshlrev_b32_e32 v79, 3, v29
	v_mov_b32_e32 v91, v55
	v_pk_add_f32 v[62:63], v[90:91], v[62:63]
	ds_write2_b64 v79, v[60:61], v[62:63] offset1:4
	v_pk_mul_f32 v[60:61], v[50:51], s[30:31]
	v_pk_mul_f32 v[92:93], v[58:59], s[22:23]
	v_pk_fma_f32 v[62:63], v[52:53], s[28:29], v[60:61] neg_lo:[1,0,0] neg_hi:[1,0,0]
	v_pk_fma_f32 v[90:91], v[0:1], s[28:29], v[60:61]
	v_pk_fma_f32 v[96:97], v[26:27], s[0:1], v[92:93] neg_lo:[1,0,0] neg_hi:[1,0,0]
	v_mov_b32_e32 v63, v91
	v_pk_fma_f32 v[102:103], v[26:27], s[0:1], v[92:93]
	v_pk_add_f32 v[62:63], v[24:25], v[62:63]
	v_mov_b32_e32 v97, v103
	v_pk_add_f32 v[62:63], v[96:97], v[62:63]
	v_pk_mul_f32 v[96:97], v[100:101], s[34:35]
	v_pk_mul_f32 v[120:121], v[58:59], s[34:35]
	v_pk_fma_f32 v[104:105], v[36:37], s[40:41], v[96:97] neg_lo:[1,0,0] neg_hi:[1,0,0]
	v_pk_fma_f32 v[106:107], v[36:37], s[40:41], v[96:97]
	v_pk_fma_f32 v[122:123], v[26:27], s[40:41], v[120:121] neg_lo:[1,0,0] neg_hi:[1,0,0]
	v_mov_b32_e32 v105, v107
	v_pk_add_f32 v[62:63], v[104:105], v[62:63]
	v_pk_mul_f32 v[104:105], v[94:95], s[36:37]
	v_pk_fma_f32 v[124:125], v[26:27], s[40:41], v[120:121]
	v_pk_fma_f32 v[108:109], v[42:43], s[16:17], v[104:105] neg_lo:[1,0,0] neg_hi:[1,0,0]
	v_pk_fma_f32 v[110:111], v[42:43], s[16:17], v[104:105]
	s_mov_b32 s34, 0x3f68dda4
	v_mov_b32_e32 v109, v111
	v_pk_add_f32 v[62:63], v[108:109], v[62:63]
	v_pk_mul_f32 v[108:109], v[88:89], s[26:27]
	v_mov_b32_e32 v123, v125
	v_pk_fma_f32 v[112:113], v[48:49], s[18:19], v[108:109] neg_lo:[1,0,0] neg_hi:[1,0,0]
	v_pk_fma_f32 v[114:115], v[48:49], s[18:19], v[108:109]
	s_mov_b32 s45, s34
	v_mov_b32_e32 v113, v115
	v_pk_add_f32 v[62:63], v[112:113], v[62:63]
	v_pk_mul_f32 v[112:113], v[50:51], s[38:39]
	s_mov_b32 s35, s29
	v_pk_fma_f32 v[116:117], v[52:53], s[8:9], v[112:113] neg_lo:[1,0,0] neg_hi:[1,0,0]
	v_pk_fma_f32 v[118:119], v[0:1], s[8:9], v[112:113]
	v_pk_mul_f32 v[138:139], v[58:59], s[36:37]
	v_mov_b32_e32 v117, v119
	v_pk_add_f32 v[116:117], v[24:25], v[116:117]
	v_pk_fma_f32 v[140:141], v[26:27], s[16:17], v[138:139] neg_lo:[1,0,0] neg_hi:[1,0,0]
	v_pk_add_f32 v[116:117], v[122:123], v[116:117]
	v_pk_mul_f32 v[122:123], v[100:101], s[44:45]
	v_pk_fma_f32 v[142:143], v[26:27], s[16:17], v[138:139]
	v_pk_fma_f32 v[126:127], v[36:37], s[34:35], v[122:123] neg_lo:[1,0,0] neg_hi:[1,0,0]
	v_pk_fma_f32 v[128:129], v[36:37], s[34:35], v[122:123]
	v_mov_b32_e32 v141, v143
	v_mov_b32_e32 v127, v129
	v_pk_add_f32 v[116:117], v[126:127], v[116:117]
	v_pk_mul_f32 v[126:127], v[94:95], s[42:43]
	v_pk_mul_f32 v[58:59], v[58:59], s[26:27]
	v_pk_fma_f32 v[130:131], v[42:43], s[10:11], v[126:127] neg_lo:[1,0,0] neg_hi:[1,0,0]
	v_pk_fma_f32 v[132:133], v[42:43], s[10:11], v[126:127]
	v_pk_fma_f32 v[156:157], v[26:27], s[18:19], v[58:59] neg_lo:[1,0,0] neg_hi:[1,0,0]
	v_mov_b32_e32 v131, v133
	v_pk_add_f32 v[116:117], v[130:131], v[116:117]
	v_pk_mul_f32 v[130:131], v[88:89], s[22:23]
	v_pk_fma_f32 v[158:159], v[26:27], s[18:19], v[58:59]
	v_pk_fma_f32 v[134:135], v[48:49], s[0:1], v[130:131] neg_lo:[1,0,0] neg_hi:[1,0,0]
	v_pk_fma_f32 v[136:137], v[48:49], s[0:1], v[130:131]
	v_mov_b32_e32 v157, v159
	v_mov_b32_e32 v135, v137
	v_pk_add_f32 v[116:117], v[134:135], v[116:117]
	ds_write2_b64 v79, v[62:63], v[116:117] offset0:8 offset1:12
	v_pk_mul_f32 v[62:63], v[50:51], s[22:23]
	v_pk_mul_f32 v[50:51], v[50:51], s[20:21]
	v_pk_fma_f32 v[116:117], v[52:53], s[0:1], v[62:63] neg_lo:[1,0,0] neg_hi:[1,0,0]
	v_pk_fma_f32 v[134:135], v[0:1], s[0:1], v[62:63]
	v_pk_fma_f32 v[52:53], v[52:53], s[14:15], v[50:51] neg_lo:[1,0,0] neg_hi:[1,0,0]
	v_mov_b32_e32 v117, v135
	v_pk_add_f32 v[116:117], v[24:25], v[116:117]
	s_nop 0
	v_pk_add_f32 v[116:117], v[140:141], v[116:117]
	v_pk_mul_f32 v[140:141], v[100:101], s[42:43]
	v_pk_mul_f32 v[100:101], v[100:101], s[22:23]
	v_pk_fma_f32 v[144:145], v[36:37], s[10:11], v[140:141] neg_lo:[1,0,0] neg_hi:[1,0,0]
	v_pk_fma_f32 v[146:147], v[36:37], s[10:11], v[140:141]
	v_pk_fma_f32 v[160:161], v[36:37], s[0:1], v[100:101]
	v_mov_b32_e32 v145, v147
	v_pk_add_f32 v[116:117], v[144:145], v[116:117]
	v_pk_mul_f32 v[144:145], v[94:95], s[20:21]
	v_pk_mul_f32 v[94:95], v[94:95], s[44:45]
	v_pk_fma_f32 v[148:149], v[42:43], s[14:15], v[144:145] neg_lo:[1,0,0] neg_hi:[1,0,0]
	v_pk_fma_f32 v[150:151], v[42:43], s[14:15], v[144:145]
	v_pk_fma_f32 v[162:163], v[42:43], s[34:35], v[94:95]
	v_mov_b32_e32 v149, v151
	;; [unrolled: 7-line block ×3, first 2 shown]
	v_pk_add_f32 v[116:117], v[152:153], v[116:117]
	v_pk_fma_f32 v[152:153], v[0:1], s[14:15], v[50:51]
	v_pk_fma_f32 v[50:51], v[0:1], s[14:15], v[50:51] neg_lo:[0,0,1] neg_hi:[0,0,1]
	v_mov_b32_e32 v53, v153
	v_pk_add_f32 v[52:53], v[24:25], v[52:53]
	v_mov_b32_e32 v153, v51
	v_pk_add_f32 v[52:53], v[156:157], v[52:53]
	v_pk_fma_f32 v[156:157], v[36:37], s[0:1], v[100:101] neg_lo:[1,0,0] neg_hi:[1,0,0]
	v_pk_fma_f32 v[50:51], v[26:27], s[18:19], v[58:59] neg_lo:[0,0,1] neg_hi:[0,0,1]
	v_mov_b32_e32 v157, v161
	v_pk_add_f32 v[52:53], v[156:157], v[52:53]
	v_pk_fma_f32 v[156:157], v[42:43], s[34:35], v[94:95] neg_lo:[1,0,0] neg_hi:[1,0,0]
	v_mov_b32_e32 v159, v51
	v_mov_b32_e32 v157, v163
	v_pk_add_f32 v[52:53], v[156:157], v[52:53]
	v_pk_fma_f32 v[156:157], v[48:49], s[8:9], v[88:89] neg_lo:[1,0,0] neg_hi:[1,0,0]
	v_pk_add_f32 v[50:51], v[24:25], v[152:153]
	v_mov_b32_e32 v157, v165
	v_pk_add_f32 v[52:53], v[156:157], v[52:53]
	ds_write2_b64 v79, v[116:117], v[52:53] offset0:16 offset1:20
	v_pk_fma_f32 v[52:53], v[36:37], s[0:1], v[100:101] neg_lo:[0,0,1] neg_hi:[0,0,1]
	v_pk_fma_f32 v[58:59], v[36:37], s[10:11], v[140:141] neg_lo:[0,0,1] neg_hi:[0,0,1]
	v_mov_b32_e32 v161, v53
	v_pk_fma_f32 v[52:53], v[42:43], s[34:35], v[94:95] neg_lo:[0,0,1] neg_hi:[0,0,1]
	v_pk_add_f32 v[50:51], v[158:159], v[50:51]
	v_mov_b32_e32 v163, v53
	v_pk_fma_f32 v[52:53], v[48:49], s[8:9], v[88:89] neg_lo:[0,0,1] neg_hi:[0,0,1]
	v_mov_b32_e32 v147, v59
	v_mov_b32_e32 v165, v53
	v_pk_fma_f32 v[52:53], v[0:1], s[0:1], v[62:63] neg_lo:[0,0,1] neg_hi:[0,0,1]
	v_pk_fma_f32 v[58:59], v[42:43], s[14:15], v[144:145] neg_lo:[0,0,1] neg_hi:[0,0,1]
	v_mov_b32_e32 v135, v53
	v_pk_fma_f32 v[52:53], v[26:27], s[16:17], v[138:139] neg_lo:[0,0,1] neg_hi:[0,0,1]
	v_pk_add_f32 v[50:51], v[160:161], v[50:51]
	v_mov_b32_e32 v143, v53
	v_pk_add_f32 v[52:53], v[24:25], v[134:135]
	v_mov_b32_e32 v151, v59
	v_pk_add_f32 v[52:53], v[142:143], v[52:53]
	v_pk_fma_f32 v[58:59], v[48:49], s[34:35], v[148:149] neg_lo:[0,0,1] neg_hi:[0,0,1]
	v_pk_add_f32 v[52:53], v[146:147], v[52:53]
	v_pk_add_f32 v[50:51], v[162:163], v[50:51]
	;; [unrolled: 1-line block ×3, first 2 shown]
	v_mov_b32_e32 v155, v59
	v_pk_add_f32 v[50:51], v[164:165], v[50:51]
	v_pk_add_f32 v[52:53], v[154:155], v[52:53]
	ds_write2_b64 v79, v[50:51], v[52:53] offset0:24 offset1:28
	v_pk_fma_f32 v[52:53], v[36:37], s[34:35], v[122:123] neg_lo:[0,0,1] neg_hi:[0,0,1]
	v_pk_fma_f32 v[50:51], v[0:1], s[8:9], v[112:113] neg_lo:[0,0,1] neg_hi:[0,0,1]
	v_mov_b32_e32 v129, v53
	v_pk_fma_f32 v[52:53], v[42:43], s[10:11], v[126:127] neg_lo:[0,0,1] neg_hi:[0,0,1]
	v_mov_b32_e32 v119, v51
	v_mov_b32_e32 v133, v53
	v_pk_fma_f32 v[52:53], v[48:49], s[0:1], v[130:131] neg_lo:[0,0,1] neg_hi:[0,0,1]
	v_pk_fma_f32 v[50:51], v[26:27], s[40:41], v[120:121] neg_lo:[0,0,1] neg_hi:[0,0,1]
	v_mov_b32_e32 v137, v53
	v_pk_fma_f32 v[52:53], v[0:1], s[28:29], v[60:61] neg_lo:[0,0,1] neg_hi:[0,0,1]
	v_pk_fma_f32 v[0:1], v[0:1], s[10:11], v[30:31] neg_lo:[0,0,1] neg_hi:[0,0,1]
	v_mov_b32_e32 v91, v53
	v_pk_fma_f32 v[52:53], v[26:27], s[0:1], v[92:93] neg_lo:[0,0,1] neg_hi:[0,0,1]
	v_mov_b32_e32 v29, v1
	v_mov_b32_e32 v125, v51
	v_pk_add_f32 v[50:51], v[24:25], v[118:119]
	v_mov_b32_e32 v103, v53
	v_pk_add_f32 v[52:53], v[24:25], v[90:91]
	v_pk_add_f32 v[0:1], v[24:25], v[28:29]
	v_pk_fma_f32 v[24:25], v[26:27], s[28:29], v[34:35] neg_lo:[0,0,1] neg_hi:[0,0,1]
	v_pk_fma_f32 v[58:59], v[36:37], s[40:41], v[96:97] neg_lo:[0,0,1] neg_hi:[0,0,1]
	v_mov_b32_e32 v33, v25
	v_pk_fma_f32 v[24:25], v[36:37], s[8:9], v[40:41] neg_lo:[0,0,1] neg_hi:[0,0,1]
	v_pk_add_f32 v[0:1], v[32:33], v[0:1]
	v_mov_b32_e32 v39, v25
	v_pk_fma_f32 v[24:25], v[42:43], s[0:1], v[46:47] neg_lo:[0,0,1] neg_hi:[0,0,1]
	v_pk_add_f32 v[0:1], v[38:39], v[0:1]
	;; [unrolled: 3-line block ×3, first 2 shown]
	v_pk_add_f32 v[52:53], v[102:103], v[52:53]
	v_mov_b32_e32 v107, v59
	v_pk_fma_f32 v[58:59], v[42:43], s[16:17], v[104:105] neg_lo:[0,0,1] neg_hi:[0,0,1]
	v_pk_add_f32 v[0:1], v[44:45], v[0:1]
	v_mov_b32_e32 v55, v25
	v_pk_add_f32 v[50:51], v[128:129], v[50:51]
	v_pk_add_f32 v[52:53], v[106:107], v[52:53]
	v_mov_b32_e32 v111, v59
	v_pk_fma_f32 v[58:59], v[48:49], s[18:19], v[108:109] neg_lo:[0,0,1] neg_hi:[0,0,1]
	v_pk_add_f32 v[0:1], v[54:55], v[0:1]
	v_pk_add_f32 v[50:51], v[132:133], v[50:51]
	;; [unrolled: 1-line block ×3, first 2 shown]
	v_mov_b32_e32 v115, v59
	ds_write_b64 v79, v[0:1] offset:320
	v_mov_b64_e32 v[0:1], s[24:25]
	v_pk_add_f32 v[50:51], v[136:137], v[50:51]
	v_pk_add_f32 v[52:53], v[114:115], v[52:53]
	v_mad_u64_u32 v[0:1], s[24:25], v68, s33, v[0:1]
	ds_write2_b64 v79, v[50:51], v[52:53] offset0:32 offset1:36
	s_waitcnt lgkmcnt(0)
	; wave barrier
	s_waitcnt lgkmcnt(0)
	global_load_dwordx4 v[24:27], v[0:1], off offset:320
	global_load_dwordx4 v[32:35], v[0:1], off offset:336
	;; [unrolled: 1-line block ×5, first 2 shown]
	ds_read2_b64 v[44:47], v64 offset0:88 offset1:132
	ds_read2_b64 v[48:51], v64 offset0:176 offset1:220
	s_mov_b32 s24, s29
	s_mov_b32 s44, s1
	s_waitcnt vmcnt(4)
	v_mov_b32_e32 v0, v27
	s_waitcnt lgkmcnt(1)
	v_pk_mul_f32 v[0:1], v[44:45], v[0:1] op_sel_hi:[1,0]
	s_waitcnt vmcnt(2) lgkmcnt(0)
	v_pk_mul_f32 v[52:53], v[50:51], v[28:29] op_sel:[0,1]
	v_pk_fma_f32 v[56:57], v[44:45], v[26:27], v[0:1] op_sel:[0,0,1] op_sel_hi:[1,0,0] neg_lo:[0,0,1] neg_hi:[0,0,1]
	v_pk_fma_f32 v[58:59], v[44:45], v[26:27], v[0:1] op_sel:[0,0,1] op_sel_hi:[1,0,0]
	v_pk_mul_f32 v[0:1], v[46:47], v[32:33] op_sel:[0,1]
	v_pk_fma_f32 v[54:55], v[50:51], v[28:29], v[52:53] op_sel:[0,0,1] op_sel_hi:[1,0,0]
	v_pk_fma_f32 v[44:45], v[46:47], v[32:33], v[0:1] op_sel:[0,0,1] op_sel_hi:[1,1,0] neg_lo:[0,0,1] neg_hi:[0,0,1]
	v_pk_fma_f32 v[0:1], v[46:47], v[32:33], v[0:1] op_sel:[0,0,1] op_sel_hi:[1,0,0]
	v_pk_fma_f32 v[46:47], v[50:51], v[28:29], v[52:53] op_sel:[0,0,1] op_sel_hi:[1,1,0] neg_lo:[0,0,1] neg_hi:[0,0,1]
	ds_read2_b64 v[50:53], v99 offset0:8 offset1:52
	v_mov_b32_e32 v0, v35
	v_pk_mul_f32 v[62:63], v[48:49], v[0:1] op_sel_hi:[1,0]
	v_mov_b32_e32 v0, v31
	v_pk_fma_f32 v[60:61], v[48:49], v[34:35], v[62:63] op_sel:[0,0,1] op_sel_hi:[1,1,0] neg_lo:[0,0,1] neg_hi:[0,0,1]
	v_pk_fma_f32 v[92:93], v[48:49], v[34:35], v[62:63] op_sel:[0,0,1] op_sel_hi:[1,0,0]
	s_waitcnt lgkmcnt(0)
	v_pk_mul_f32 v[48:49], v[50:51], v[0:1] op_sel_hi:[1,0]
	s_waitcnt vmcnt(1)
	v_mov_b32_e32 v0, v39
	v_pk_fma_f32 v[62:63], v[50:51], v[30:31], v[48:49] op_sel:[0,0,1] op_sel_hi:[1,1,0] neg_lo:[0,0,1] neg_hi:[0,0,1]
	v_pk_fma_f32 v[100:101], v[50:51], v[30:31], v[48:49] op_sel:[0,0,1] op_sel_hi:[1,0,0]
	ds_read2_b64 v[48:51], v99 offset0:96 offset1:140
	v_pk_mul_f32 v[90:91], v[52:53], v[36:37] op_sel:[0,1]
	v_mov_b32_e32 v45, v1
	v_pk_fma_f32 v[88:89], v[52:53], v[36:37], v[90:91] op_sel:[0,0,1] op_sel_hi:[1,1,0] neg_lo:[0,0,1] neg_hi:[0,0,1]
	v_pk_fma_f32 v[52:53], v[52:53], v[36:37], v[90:91] op_sel:[0,0,1] op_sel_hi:[1,0,0]
	s_waitcnt lgkmcnt(0)
	v_pk_mul_f32 v[94:95], v[48:49], v[0:1] op_sel_hi:[1,0]
	ds_read_b64 v[0:1], v64 offset:3520
	v_pk_fma_f32 v[90:91], v[48:49], v[38:39], v[94:95] op_sel:[0,0,1] op_sel_hi:[1,1,0] neg_lo:[0,0,1] neg_hi:[0,0,1]
	v_pk_fma_f32 v[48:49], v[48:49], v[38:39], v[94:95] op_sel:[0,0,1] op_sel_hi:[1,0,0]
	s_waitcnt vmcnt(0)
	v_pk_mul_f32 v[96:97], v[50:51], v[40:41] op_sel:[0,1]
	v_mov_b32_e32 v91, v49
	v_pk_fma_f32 v[94:95], v[50:51], v[40:41], v[96:97] op_sel:[0,0,1] op_sel_hi:[1,0,0] neg_lo:[0,0,1] neg_hi:[0,0,1]
	v_pk_fma_f32 v[96:97], v[50:51], v[40:41], v[96:97] op_sel:[0,0,1] op_sel_hi:[1,0,0]
	ds_read2_b64 v[48:51], v64 offset1:44
	v_mov_b32_e32 v52, v43
	v_mov_b32_e32 v89, v53
	s_waitcnt lgkmcnt(1)
	v_pk_mul_f32 v[52:53], v[0:1], v[52:53] op_sel_hi:[1,0]
	v_mov_b32_e32 v63, v101
	v_pk_fma_f32 v[100:101], v[0:1], v[42:43], v[52:53] op_sel:[0,0,1] op_sel_hi:[1,0,0] neg_lo:[0,0,1] neg_hi:[0,0,1]
	v_pk_fma_f32 v[102:103], v[0:1], v[42:43], v[52:53] op_sel:[0,0,1] op_sel_hi:[1,0,0]
	v_mov_b32_e32 v0, v25
	s_waitcnt lgkmcnt(0)
	v_pk_mul_f32 v[0:1], v[50:51], v[0:1] op_sel:[1,0] op_sel_hi:[0,1]
	v_pk_fma_f32 v[104:105], v[50:51], v[24:25], v[0:1] neg_lo:[0,0,1] neg_hi:[0,0,1]
	v_mov_b32_e32 v47, v55
	v_pk_add_f32 v[52:53], v[104:105], v[100:101]
	v_pk_add_f32 v[0:1], v[104:105], v[100:101] neg_lo:[0,1] neg_hi:[0,1]
	v_pk_add_f32 v[116:117], v[56:57], v[94:95] neg_lo:[0,1] neg_hi:[0,1]
	v_mov_b32_e32 v53, v0
	v_pk_mul_f32 v[0:1], v[50:51], v[24:25] op_sel:[1,0] op_sel_hi:[0,1]
	v_mov_b32_e32 v0, v1
	v_pk_fma_f32 v[106:107], v[50:51], v[24:25], v[0:1] op_sel:[1,0,0] op_sel_hi:[0,1,1]
	v_pk_add_f32 v[54:55], v[106:107], v[102:103] op_sel:[0,1] neg_lo:[0,1] neg_hi:[0,1]
	v_pk_add_f32 v[50:51], v[106:107], v[102:103] op_sel_hi:[0,1]
	v_mov_b32_e32 v50, v54
	v_pk_mul_f32 v[0:1], v[52:53], s[42:43]
	v_pk_add_f32 v[118:119], v[58:59], v[96:97] neg_lo:[0,1] neg_hi:[0,1]
	v_mov_b32_e32 v61, v93
	v_pk_fma_f32 v[108:109], v[54:55], s[10:11], v[0:1] neg_lo:[1,0,0] neg_hi:[1,0,0]
	v_pk_fma_f32 v[110:111], v[50:51], s[10:11], v[0:1]
	v_pk_fma_f32 v[0:1], v[50:51], s[10:11], v[0:1] neg_lo:[0,0,1] neg_hi:[0,0,1]
	v_pk_add_f32 v[112:113], v[56:57], v[94:95]
	v_pk_add_f32 v[92:93], v[58:59], v[96:97]
	v_mov_b32_e32 v120, v119
	v_mov_b32_e32 v121, v116
	;; [unrolled: 1-line block ×6, first 2 shown]
	v_pk_mul_f32 v[0:1], v[120:121], s[28:29] op_sel_hi:[1,0]
	v_pk_add_f32 v[110:111], v[48:49], v[110:111]
	v_pk_fma_f32 v[122:123], v[114:115], s[24:25], v[0:1] op_sel_hi:[1,0,1]
	v_pk_fma_f32 v[124:125], v[114:115], s[24:25], v[0:1] op_sel_hi:[1,0,1] neg_lo:[0,0,1] neg_hi:[0,0,1]
	v_mov_b32_e32 v0, v122
	v_mov_b32_e32 v1, v125
	v_pk_add_f32 v[126:127], v[44:45], v[90:91] neg_lo:[0,1] neg_hi:[0,1]
	v_pk_add_f32 v[0:1], v[0:1], v[110:111]
	s_mov_b32 s42, s9
	v_pk_add_f32 v[110:111], v[44:45], v[90:91]
	v_pk_mul_f32 v[128:129], v[126:127], s[8:9] op_sel:[1,0] op_sel_hi:[0,0]
	v_mov_b32_e32 v105, v106
	v_pk_fma_f32 v[130:131], v[110:111], s[42:43], v[128:129] op_sel_hi:[1,0,1]
	v_pk_fma_f32 v[128:129], v[110:111], s[42:43], v[128:129] op_sel_hi:[1,0,1] neg_lo:[0,0,1] neg_hi:[0,0,1]
	v_mov_b32_e32 v58, v56
	v_pk_add_f32 v[56:57], v[48:49], v[104:105]
	v_mov_b32_e32 v132, v130
	v_mov_b32_e32 v133, v129
	v_pk_add_f32 v[134:135], v[60:61], v[88:89] neg_lo:[0,1] neg_hi:[0,1]
	v_pk_add_f32 v[56:57], v[56:57], v[58:59]
	v_pk_add_f32 v[0:1], v[132:133], v[0:1]
	;; [unrolled: 1-line block ×3, first 2 shown]
	v_pk_mul_f32 v[136:137], v[134:135], s[0:1] op_sel:[1,0] op_sel_hi:[0,0]
	v_pk_add_f32 v[44:45], v[56:57], v[44:45]
	v_pk_fma_f32 v[138:139], v[132:133], s[44:45], v[136:137] op_sel_hi:[1,0,1]
	v_pk_fma_f32 v[136:137], v[132:133], s[44:45], v[136:137] op_sel_hi:[1,0,1] neg_lo:[0,0,1] neg_hi:[0,0,1]
	v_pk_add_f32 v[44:45], v[44:45], v[60:61]
	v_mov_b32_e32 v140, v138
	v_mov_b32_e32 v141, v137
	v_pk_add_f32 v[44:45], v[44:45], v[46:47]
	v_pk_add_f32 v[0:1], v[140:141], v[0:1]
	v_pk_add_f32 v[140:141], v[46:47], v[62:63]
	v_pk_add_f32 v[142:143], v[46:47], v[62:63] neg_lo:[0,1] neg_hi:[0,1]
	v_pk_add_f32 v[44:45], v[44:45], v[62:63]
	v_mov_b32_e32 v125, v123
	v_pk_add_f32 v[46:47], v[48:49], v[108:109]
	v_pk_mul_f32 v[144:145], v[142:143], s[14:15] op_sel:[1,0] op_sel_hi:[0,0]
	v_pk_add_f32 v[44:45], v[44:45], v[88:89]
	v_mov_b32_e32 v129, v131
	v_pk_add_f32 v[46:47], v[124:125], v[46:47]
	v_pk_fma_f32 v[146:147], v[140:141], s[46:47], v[144:145] op_sel_hi:[1,0,1]
	v_pk_fma_f32 v[144:145], v[140:141], s[46:47], v[144:145] op_sel_hi:[1,0,1] neg_lo:[0,0,1] neg_hi:[0,0,1]
	v_mov_b32_e32 v96, v94
	v_pk_add_f32 v[44:45], v[44:45], v[90:91]
	v_mov_b32_e32 v137, v139
	v_pk_add_f32 v[46:47], v[128:129], v[46:47]
	v_mov_b32_e32 v149, v145
	v_mov_b32_e32 v102, v100
	v_pk_add_f32 v[44:45], v[44:45], v[96:97]
	v_mov_b32_e32 v145, v147
	v_pk_add_f32 v[46:47], v[136:137], v[46:47]
	v_pk_add_f32 v[44:45], v[44:45], v[102:103]
	;; [unrolled: 1-line block ×3, first 2 shown]
	ds_write2_b64 v64, v[44:45], v[46:47] offset1:44
	v_pk_mul_f32 v[44:45], v[52:53], s[30:31]
	v_pk_mul_f32 v[128:129], v[142:143], s[0:1] op_sel:[1,0] op_sel_hi:[0,0]
	v_pk_fma_f32 v[56:57], v[54:55], s[28:29], v[44:45] neg_lo:[1,0,0] neg_hi:[1,0,0]
	v_pk_fma_f32 v[46:47], v[50:51], s[28:29], v[44:45]
	v_pk_fma_f32 v[44:45], v[50:51], s[28:29], v[44:45] neg_lo:[0,0,1] neg_hi:[0,0,1]
	v_mov_b32_e32 v57, v47
	v_mov_b32_e32 v47, v45
	v_pk_mul_f32 v[44:45], v[52:53], s[38:39]
	s_mov_b32 s28, s11
	v_pk_fma_f32 v[58:59], v[54:55], s[8:9], v[44:45] neg_lo:[1,0,0] neg_hi:[1,0,0]
	v_pk_fma_f32 v[60:61], v[50:51], s[8:9], v[44:45]
	v_pk_fma_f32 v[44:45], v[50:51], s[8:9], v[44:45] neg_lo:[0,0,1] neg_hi:[0,0,1]
	v_mov_b32_e32 v59, v61
	v_mov_b32_e32 v61, v45
	v_pk_mul_f32 v[44:45], v[120:121], s[0:1] op_sel_hi:[1,0]
	v_pk_add_f32 v[56:57], v[48:49], v[56:57]
	v_pk_fma_f32 v[62:63], v[114:115], s[44:45], v[44:45] op_sel_hi:[1,0,1]
	v_pk_fma_f32 v[88:89], v[114:115], s[44:45], v[44:45] op_sel_hi:[1,0,1] neg_lo:[0,0,1] neg_hi:[0,0,1]
	v_pk_mul_f32 v[44:45], v[120:121], s[40:41] op_sel_hi:[1,0]
	v_pk_add_f32 v[58:59], v[48:49], v[58:59]
	v_pk_fma_f32 v[90:91], v[114:115], s[46:47], v[44:45] op_sel_hi:[1,0,1]
	v_pk_fma_f32 v[94:95], v[114:115], s[46:47], v[44:45] op_sel_hi:[1,0,1] neg_lo:[0,0,1] neg_hi:[0,0,1]
	v_pk_add_f32 v[44:45], v[48:49], v[46:47]
	v_mov_b32_e32 v46, v62
	v_mov_b32_e32 v47, v89
	v_pk_add_f32 v[44:45], v[46:47], v[44:45]
	v_pk_mul_f32 v[46:47], v[126:127], s[40:41] op_sel:[1,0] op_sel_hi:[0,0]
	v_pk_fma_f32 v[96:97], v[110:111], s[46:47], v[46:47] op_sel_hi:[1,0,1]
	v_pk_fma_f32 v[100:101], v[110:111], s[46:47], v[46:47] op_sel_hi:[1,0,1] neg_lo:[0,0,1] neg_hi:[0,0,1]
	v_mov_b32_e32 v46, v96
	v_mov_b32_e32 v47, v101
	v_pk_add_f32 v[44:45], v[46:47], v[44:45]
	v_pk_mul_f32 v[46:47], v[134:135], s[16:17] op_sel:[1,0] op_sel_hi:[0,0]
	v_pk_fma_f32 v[102:103], v[132:133], s[42:43], v[46:47] op_sel_hi:[1,0,1]
	v_pk_fma_f32 v[104:105], v[132:133], s[42:43], v[46:47] op_sel_hi:[1,0,1] neg_lo:[0,0,1] neg_hi:[0,0,1]
	v_mov_b32_e32 v46, v102
	v_mov_b32_e32 v47, v105
	v_pk_add_f32 v[44:45], v[46:47], v[44:45]
	v_pk_add_f32 v[46:47], v[48:49], v[60:61]
	v_mov_b32_e32 v60, v90
	v_mov_b32_e32 v61, v95
	v_pk_add_f32 v[46:47], v[60:61], v[46:47]
	v_pk_mul_f32 v[60:61], v[126:127], s[34:35] op_sel:[1,0] op_sel_hi:[0,0]
	v_pk_fma_f32 v[106:107], v[110:111], s[24:25], v[60:61] op_sel_hi:[1,0,1]
	v_pk_fma_f32 v[60:61], v[110:111], s[24:25], v[60:61] op_sel_hi:[1,0,1] neg_lo:[0,0,1] neg_hi:[0,0,1]
	v_mov_b32_e32 v108, v106
	v_mov_b32_e32 v109, v61
	v_pk_add_f32 v[46:47], v[108:109], v[46:47]
	v_pk_mul_f32 v[108:109], v[134:135], s[10:11] op_sel:[1,0] op_sel_hi:[0,0]
	v_pk_fma_f32 v[114:115], v[132:133], s[28:29], v[108:109] op_sel_hi:[1,0,1]
	v_pk_fma_f32 v[108:109], v[132:133], s[28:29], v[108:109] op_sel_hi:[1,0,1] neg_lo:[0,0,1] neg_hi:[0,0,1]
	v_mov_b32_e32 v120, v114
	v_mov_b32_e32 v121, v109
	;; [unrolled: 1-line block ×4, first 2 shown]
	v_pk_add_f32 v[120:121], v[120:121], v[46:47]
	v_pk_mul_f32 v[46:47], v[142:143], s[18:19] op_sel:[1,0] op_sel_hi:[0,0]
	v_mov_b32_e32 v101, v97
	v_mov_b32_e32 v61, v107
	v_pk_add_f32 v[56:57], v[88:89], v[56:57]
	v_pk_add_f32 v[58:59], v[94:95], v[58:59]
	v_pk_fma_f32 v[122:123], v[140:141], s[28:29], v[46:47] op_sel_hi:[1,0,1]
	v_pk_fma_f32 v[124:125], v[140:141], s[28:29], v[46:47] op_sel_hi:[1,0,1] neg_lo:[0,0,1] neg_hi:[0,0,1]
	v_pk_fma_f32 v[130:131], v[140:141], s[44:45], v[128:129] op_sel_hi:[1,0,1]
	v_pk_fma_f32 v[128:129], v[140:141], s[44:45], v[128:129] op_sel_hi:[1,0,1] neg_lo:[0,0,1] neg_hi:[0,0,1]
	v_mov_b32_e32 v105, v103
	v_mov_b32_e32 v109, v115
	v_pk_add_f32 v[56:57], v[100:101], v[56:57]
	v_pk_add_f32 v[58:59], v[60:61], v[58:59]
	v_mov_b32_e32 v47, v125
	v_mov_b32_e32 v137, v129
	v_mov_b32_e32 v125, v123
	v_mov_b32_e32 v129, v131
	v_pk_add_f32 v[56:57], v[104:105], v[56:57]
	v_pk_add_f32 v[58:59], v[108:109], v[58:59]
	;; [unrolled: 1-line block ×4, first 2 shown]
	v_mov_b32_e32 v113, v116
	v_pk_mul_f32 v[62:63], v[52:53], s[22:23]
	ds_write2_b64 v64, v[56:57], v[58:59] offset0:88 offset1:132
	v_mov_b32_e32 v92, v119
	v_pk_mul_f32 v[56:57], v[112:113], s[36:37]
	v_pk_fma_f32 v[88:89], v[54:55], s[0:1], v[62:63] neg_lo:[1,0,0] neg_hi:[1,0,0]
	v_pk_fma_f32 v[90:91], v[50:51], s[0:1], v[62:63]
	v_pk_fma_f32 v[58:59], v[118:119], s[16:17], v[56:57] op_sel:[1,0,0] neg_lo:[1,0,0] neg_hi:[1,0,0]
	v_pk_fma_f32 v[60:61], v[92:93], s[16:17], v[56:57]
	v_mov_b32_e32 v89, v91
	v_mov_b32_e32 v59, v61
	v_pk_add_f32 v[88:89], v[48:49], v[88:89]
	v_pk_mul_f32 v[52:53], v[52:53], s[20:21]
	v_pk_add_f32 v[58:59], v[58:59], v[88:89]
	v_pk_mul_f32 v[88:89], v[126:127], s[10:11] op_sel:[1,0] op_sel_hi:[0,0]
	v_pk_fma_f32 v[94:95], v[110:111], s[28:29], v[88:89] op_sel_hi:[1,0,1] neg_lo:[0,0,1] neg_hi:[0,0,1]
	v_pk_fma_f32 v[88:89], v[110:111], s[28:29], v[88:89] op_sel_hi:[1,0,1]
	v_mov_b32_e32 v96, v94
	v_mov_b32_e32 v97, v89
	v_pk_add_f32 v[58:59], v[96:97], v[58:59]
	v_pk_mul_f32 v[96:97], v[134:135], s[14:15] op_sel:[1,0] op_sel_hi:[0,0]
	v_pk_fma_f32 v[100:101], v[132:133], s[46:47], v[96:97] op_sel_hi:[1,0,1] neg_lo:[0,0,1] neg_hi:[0,0,1]
	v_pk_fma_f32 v[96:97], v[132:133], s[46:47], v[96:97] op_sel_hi:[1,0,1]
	v_mov_b32_e32 v102, v100
	v_mov_b32_e32 v103, v97
	v_pk_add_f32 v[58:59], v[102:103], v[58:59]
	v_pk_mul_f32 v[102:103], v[142:143], s[34:35] op_sel:[1,0] op_sel_hi:[0,0]
	v_mov_b32_e32 v46, v122
	v_pk_fma_f32 v[104:105], v[140:141], s[24:25], v[102:103] op_sel_hi:[1,0,1] neg_lo:[0,0,1] neg_hi:[0,0,1]
	v_pk_fma_f32 v[102:103], v[140:141], s[24:25], v[102:103] op_sel_hi:[1,0,1]
	v_pk_fma_f32 v[54:55], v[54:55], s[14:15], v[52:53] neg_lo:[1,0,0] neg_hi:[1,0,0]
	v_pk_fma_f32 v[122:123], v[50:51], s[14:15], v[52:53]
	v_pk_mul_f32 v[112:113], v[112:113], s[26:27]
	v_pk_fma_f32 v[52:53], v[50:51], s[14:15], v[52:53] neg_lo:[0,0,1] neg_hi:[0,0,1]
	v_mov_b32_e32 v106, v104
	v_mov_b32_e32 v107, v103
	;; [unrolled: 1-line block ×3, first 2 shown]
	v_pk_fma_f32 v[118:119], v[118:119], s[18:19], v[112:113] op_sel:[1,0,0] neg_lo:[1,0,0] neg_hi:[1,0,0]
	v_pk_fma_f32 v[124:125], v[92:93], s[18:19], v[112:113]
	v_mov_b32_e32 v123, v53
	v_pk_fma_f32 v[50:51], v[50:51], s[0:1], v[62:63] neg_lo:[0,0,1] neg_hi:[0,0,1]
	v_pk_fma_f32 v[52:53], v[92:93], s[18:19], v[112:113] neg_lo:[0,0,1] neg_hi:[0,0,1]
	v_pk_add_f32 v[58:59], v[106:107], v[58:59]
	v_pk_mul_f32 v[106:107], v[126:127], s[0:1] op_sel:[1,0] op_sel_hi:[0,0]
	v_mov_b32_e32 v119, v125
	v_mov_b32_e32 v91, v51
	;; [unrolled: 1-line block ×3, first 2 shown]
	v_pk_fma_f32 v[52:53], v[92:93], s[16:17], v[56:57] neg_lo:[0,0,1] neg_hi:[0,0,1]
	v_pk_fma_f32 v[108:109], v[110:111], s[44:45], v[106:107] op_sel_hi:[1,0,1] neg_lo:[0,0,1] neg_hi:[0,0,1]
	v_pk_fma_f32 v[106:107], v[110:111], s[44:45], v[106:107] op_sel_hi:[1,0,1]
	v_pk_mul_f32 v[110:111], v[134:135], s[34:35] op_sel:[1,0] op_sel_hi:[0,0]
	v_pk_add_f32 v[54:55], v[48:49], v[54:55]
	v_pk_add_f32 v[50:51], v[48:49], v[122:123]
	;; [unrolled: 1-line block ×3, first 2 shown]
	v_mov_b32_e32 v61, v53
	v_mov_b32_e32 v136, v130
	v_pk_fma_f32 v[114:115], v[132:133], s[24:25], v[110:111] op_sel_hi:[1,0,1] neg_lo:[0,0,1] neg_hi:[0,0,1]
	v_pk_fma_f32 v[110:111], v[132:133], s[24:25], v[110:111] op_sel_hi:[1,0,1]
	v_pk_mul_f32 v[116:117], v[142:143], s[8:9] op_sel:[1,0] op_sel_hi:[0,0]
	v_pk_add_f32 v[54:55], v[118:119], v[54:55]
	v_mov_b32_e32 v118, v108
	v_mov_b32_e32 v119, v107
	;; [unrolled: 1-line block ×3, first 2 shown]
	v_pk_add_f32 v[50:51], v[124:125], v[50:51]
	v_mov_b32_e32 v89, v95
	v_pk_add_f32 v[48:49], v[60:61], v[48:49]
	v_pk_add_f32 v[46:47], v[46:47], v[44:45]
	;; [unrolled: 1-line block ×3, first 2 shown]
	v_pk_fma_f32 v[120:121], v[140:141], s[42:43], v[116:117] op_sel_hi:[1,0,1] neg_lo:[0,0,1] neg_hi:[0,0,1]
	v_pk_fma_f32 v[116:117], v[140:141], s[42:43], v[116:117] op_sel_hi:[1,0,1]
	v_pk_add_f32 v[54:55], v[118:119], v[54:55]
	v_mov_b32_e32 v118, v114
	v_mov_b32_e32 v119, v111
	v_mov_b32_e32 v111, v115
	v_pk_add_f32 v[50:51], v[106:107], v[50:51]
	v_mov_b32_e32 v97, v101
	v_pk_add_f32 v[48:49], v[88:89], v[48:49]
	v_pk_add_f32 v[54:55], v[118:119], v[54:55]
	v_mov_b32_e32 v118, v120
	v_mov_b32_e32 v119, v117
	;; [unrolled: 1-line block ×3, first 2 shown]
	v_pk_add_f32 v[50:51], v[110:111], v[50:51]
	v_mov_b32_e32 v103, v105
	v_pk_add_f32 v[48:49], v[96:97], v[48:49]
	v_mov_b32_e32 v148, v146
	v_pk_add_f32 v[54:55], v[118:119], v[54:55]
	v_pk_add_f32 v[50:51], v[116:117], v[50:51]
	;; [unrolled: 1-line block ×4, first 2 shown]
	ds_write2_b64 v64, v[58:59], v[54:55] offset0:176 offset1:220
	ds_write2_b64 v99, v[50:51], v[48:49] offset0:8 offset1:52
	;; [unrolled: 1-line block ×3, first 2 shown]
	ds_write_b64 v64, v[0:1] offset:3520
	s_waitcnt lgkmcnt(0)
	; wave barrier
	s_waitcnt lgkmcnt(0)
	global_load_dwordx2 v[54:55], v[66:67], off offset:3872
	s_add_u32 s0, s12, 0xf20
	s_addc_u32 s1, s13, 0
	v_lshlrev_b32_e32 v48, 3, v68
	global_load_dwordx2 v[60:61], v48, s[0:1] offset:352
	global_load_dwordx2 v[62:63], v48, s[0:1] offset:968
	global_load_dwordx2 v[88:89], v48, s[0:1] offset:1320
	global_load_dwordx2 v[90:91], v48, s[0:1] offset:1936
	global_load_dwordx2 v[92:93], v48, s[0:1] offset:2288
	global_load_dwordx2 v[94:95], v48, s[0:1] offset:2904
	global_load_dwordx2 v[96:97], v48, s[0:1] offset:3256
	ds_read2_b64 v[50:53], v64 offset1:44
	s_waitcnt vmcnt(7) lgkmcnt(0)
	v_mul_f32_e32 v49, v51, v55
	v_mul_f32_e32 v57, v50, v55
	v_fma_f32 v56, v50, v54, -v49
	v_fmac_f32_e32 v57, v51, v54
	ds_write_b64 v64, v[56:57]
	ds_read2_b64 v[56:59], v64 offset0:121 offset1:165
	s_waitcnt vmcnt(6)
	v_mul_f32_e32 v49, v53, v61
	v_fma_f32 v54, v52, v60, -v49
	v_mul_f32_e32 v55, v52, v61
	v_fmac_f32_e32 v55, v53, v60
	s_waitcnt vmcnt(5) lgkmcnt(0)
	v_mul_f32_e32 v49, v57, v63
	v_fma_f32 v100, v56, v62, -v49
	v_mul_f32_e32 v101, v56, v63
	v_add_u32_e32 v56, 0x400, v64
	ds_read2_b64 v[50:53], v56 offset0:114 offset1:158
	s_waitcnt vmcnt(4)
	v_mul_f32_e32 v49, v59, v89
	v_mul_f32_e32 v63, v58, v89
	v_fmac_f32_e32 v101, v57, v62
	v_fma_f32 v62, v58, v88, -v49
	v_fmac_f32_e32 v63, v59, v88
	ds_read2_b64 v[58:61], v99 offset0:107 offset1:151
	s_waitcnt vmcnt(3) lgkmcnt(1)
	v_mul_f32_e32 v49, v51, v91
	v_mul_f32_e32 v89, v50, v91
	v_fma_f32 v88, v50, v90, -v49
	v_fmac_f32_e32 v89, v51, v90
	s_waitcnt vmcnt(2)
	v_mul_f32_e32 v49, v53, v93
	v_mul_f32_e32 v51, v52, v93
	v_fma_f32 v50, v52, v92, -v49
	v_fmac_f32_e32 v51, v53, v92
	s_waitcnt vmcnt(1) lgkmcnt(0)
	v_mul_f32_e32 v49, v59, v95
	v_mul_f32_e32 v53, v58, v95
	v_fma_f32 v52, v58, v94, -v49
	v_fmac_f32_e32 v53, v59, v94
	s_waitcnt vmcnt(0)
	v_mul_f32_e32 v49, v61, v97
	v_mul_f32_e32 v59, v60, v97
	v_fma_f32 v58, v60, v96, -v49
	v_fmac_f32_e32 v59, v61, v96
	ds_write2_b64 v64, v[54:55], v[100:101] offset0:44 offset1:121
	ds_write2_b64 v64, v[62:63], v[88:89] offset0:165 offset1:242
	;; [unrolled: 1-line block ×3, first 2 shown]
	ds_write_b64 v64, v[58:59] offset:3256
	s_and_saveexec_b64 s[8:9], vcc
	s_cbranch_execz .LBB0_9
; %bb.8:
	v_mov_b32_e32 v49, 0
	v_lshl_add_u64 v[48:49], s[0:1], 0, v[48:49]
	global_load_dwordx2 v[58:59], v[48:49], off offset:704
	global_load_dwordx2 v[60:61], v[48:49], off offset:1672
	;; [unrolled: 1-line block ×4, first 2 shown]
	ds_read2_b64 v[48:51], v64 offset0:88 offset1:209
	ds_read2_b64 v[52:55], v99 offset0:74 offset1:195
	s_waitcnt vmcnt(3) lgkmcnt(1)
	v_mul_f32_e32 v57, v49, v59
	v_mul_f32_e32 v91, v48, v59
	s_waitcnt vmcnt(2)
	v_mul_f32_e32 v92, v51, v61
	v_mul_f32_e32 v59, v50, v61
	s_waitcnt vmcnt(1) lgkmcnt(0)
	v_mul_f32_e32 v93, v53, v63
	v_mul_f32_e32 v61, v52, v63
	s_waitcnt vmcnt(0)
	v_mul_f32_e32 v94, v55, v89
	v_mul_f32_e32 v63, v54, v89
	v_fma_f32 v90, v48, v58, -v57
	v_fmac_f32_e32 v91, v49, v58
	v_fma_f32 v58, v50, v60, -v92
	v_fmac_f32_e32 v59, v51, v60
	;; [unrolled: 2-line block ×4, first 2 shown]
	ds_write2_b64 v64, v[90:91], v[58:59] offset0:88 offset1:209
	ds_write2_b64 v99, v[60:61], v[62:63] offset0:74 offset1:195
.LBB0_9:
	s_or_b64 exec, exec, s[8:9]
	s_waitcnt lgkmcnt(0)
	; wave barrier
	s_waitcnt lgkmcnt(0)
	ds_read2_b64 v[48:51], v64 offset1:44
	ds_read2_b64 v[52:55], v64 offset0:121 offset1:165
	ds_read2_b64 v[56:59], v56 offset0:114 offset1:158
	;; [unrolled: 1-line block ×3, first 2 shown]
	v_add_u32_e32 v124, 0x580, v98
	s_and_saveexec_b64 s[0:1], vcc
	s_cbranch_execz .LBB0_11
; %bb.10:
	v_add_u32_e32 v0, 0x800, v64
	ds_read2_b64 v[44:47], v64 offset0:88 offset1:209
	ds_read2_b64 v[0:3], v0 offset0:74 offset1:195
.LBB0_11:
	s_or_b64 exec, exec, s[0:1]
	s_waitcnt lgkmcnt(1)
	v_pk_add_f32 v[126:127], v[48:49], v[56:57] neg_lo:[0,1] neg_hi:[0,1]
	s_waitcnt lgkmcnt(0)
	v_pk_add_f32 v[128:129], v[52:53], v[60:61] neg_lo:[0,1] neg_hi:[0,1]
	v_pk_fma_f32 v[48:49], v[48:49], 2.0, v[126:127] op_sel_hi:[1,0,1] neg_lo:[0,0,1] neg_hi:[0,0,1]
	v_pk_fma_f32 v[52:53], v[52:53], 2.0, v[128:129] op_sel_hi:[1,0,1] neg_lo:[0,0,1] neg_hi:[0,0,1]
	v_pk_add_f32 v[130:131], v[50:51], v[58:59] neg_lo:[0,1] neg_hi:[0,1]
	v_pk_add_f32 v[56:57], v[48:49], v[52:53] neg_lo:[0,1] neg_hi:[0,1]
	;; [unrolled: 1-line block ×3, first 2 shown]
	v_pk_fma_f32 v[60:61], v[48:49], 2.0, v[56:57] op_sel_hi:[1,0,1] neg_lo:[0,0,1] neg_hi:[0,0,1]
	v_pk_add_f32 v[58:59], v[126:127], v[128:129] op_sel:[0,1] op_sel_hi:[1,0]
	v_pk_add_f32 v[48:49], v[126:127], v[128:129] op_sel:[0,1] op_sel_hi:[1,0] neg_lo:[0,1] neg_hi:[0,1]
	v_pk_fma_f32 v[50:51], v[50:51], 2.0, v[130:131] op_sel_hi:[1,0,1] neg_lo:[0,0,1] neg_hi:[0,0,1]
	v_mov_b32_e32 v59, v49
	v_pk_fma_f32 v[48:49], v[54:55], 2.0, v[132:133] op_sel_hi:[1,0,1] neg_lo:[0,0,1] neg_hi:[0,0,1]
	v_pk_fma_f32 v[62:63], v[126:127], 2.0, v[58:59] op_sel_hi:[1,0,1] neg_lo:[0,0,1] neg_hi:[0,0,1]
	v_pk_add_f32 v[48:49], v[50:51], v[48:49] neg_lo:[0,1] neg_hi:[0,1]
	s_waitcnt lgkmcnt(0)
	; wave barrier
	ds_write_b128 v69, v[60:63]
	ds_write_b128 v69, v[56:59] offset:16
	v_pk_fma_f32 v[52:53], v[50:51], 2.0, v[48:49] op_sel_hi:[1,0,1] neg_lo:[0,0,1] neg_hi:[0,0,1]
	v_pk_add_f32 v[50:51], v[130:131], v[132:133] op_sel:[0,1] op_sel_hi:[1,0]
	v_pk_add_f32 v[56:57], v[130:131], v[132:133] op_sel:[0,1] op_sel_hi:[1,0] neg_lo:[0,1] neg_hi:[0,1]
	v_mov_b32_e32 v122, v6
	v_mov_b32_e32 v51, v57
	;; [unrolled: 1-line block ×55, first 2 shown]
	v_pk_fma_f32 v[54:55], v[130:131], 2.0, v[50:51] op_sel_hi:[1,0,1] neg_lo:[0,0,1] neg_hi:[0,0,1]
	ds_write_b128 v124, v[52:55]
	ds_write_b128 v124, v[48:51] offset:16
	s_and_saveexec_b64 s[0:1], vcc
	s_cbranch_execz .LBB0_13
; %bb.12:
	v_pk_add_f32 v[48:49], v[44:45], v[0:1] neg_lo:[0,1] neg_hi:[0,1]
	v_pk_add_f32 v[50:51], v[46:47], v[2:3] neg_lo:[0,1] neg_hi:[0,1]
	v_pk_fma_f32 v[2:3], v[44:45], 2.0, v[48:49] op_sel_hi:[1,0,1] neg_lo:[0,0,1] neg_hi:[0,0,1]
	v_pk_fma_f32 v[0:1], v[46:47], 2.0, v[50:51] op_sel_hi:[1,0,1] neg_lo:[0,0,1] neg_hi:[0,0,1]
	s_nop 0
	v_pk_add_f32 v[0:1], v[2:3], v[0:1] neg_lo:[0,1] neg_hi:[0,1]
	s_nop 0
	v_pk_fma_f32 v[44:45], v[2:3], 2.0, v[0:1] op_sel_hi:[1,0,1] neg_lo:[0,0,1] neg_hi:[0,0,1]
	v_pk_add_f32 v[2:3], v[48:49], v[50:51] op_sel:[0,1] op_sel_hi:[1,0]
	v_pk_add_f32 v[50:51], v[48:49], v[50:51] op_sel:[0,1] op_sel_hi:[1,0] neg_lo:[0,1] neg_hi:[0,1]
	s_nop 0
	v_mov_b32_e32 v3, v51
	v_pk_fma_f32 v[46:47], v[48:49], 2.0, v[2:3] op_sel_hi:[1,0,1] neg_lo:[0,0,1] neg_hi:[0,0,1]
	ds_write_b128 v65, v[44:47]
	ds_write_b128 v65, v[0:3] offset:16
.LBB0_13:
	s_or_b64 exec, exec, s[0:1]
	s_waitcnt lgkmcnt(0)
	; wave barrier
	s_waitcnt lgkmcnt(0)
	ds_read2_b64 v[46:49], v64 offset0:88 offset1:132
	ds_read2_b64 v[0:3], v64 offset1:44
	ds_read2_b64 v[50:53], v64 offset0:176 offset1:220
	v_add_u32_e32 v44, 0x800, v64
	ds_read2_b64 v[54:57], v44 offset0:8 offset1:52
	ds_read2_b64 v[58:61], v44 offset0:96 offset1:140
	ds_read_b64 v[62:63], v64 offset:3520
	s_waitcnt lgkmcnt(5)
	v_pk_mul_f32 v[6:7], v[6:7], v[46:47]
	s_mov_b32 s14, 0xbf0a6770
	v_pk_fma_f32 v[124:125], v[122:123], v[46:47], v[6:7] op_sel:[0,0,1] op_sel_hi:[1,1,0]
	v_pk_fma_f32 v[6:7], v[122:123], v[46:47], v[6:7] op_sel:[0,0,1] op_sel_hi:[1,1,0] neg_lo:[0,0,1] neg_hi:[0,0,1]
	s_mov_b32 s0, 0x3f575c64
	v_mov_b32_e32 v125, v7
	v_pk_mul_f32 v[6:7], v[16:17], v[48:49]
	s_mov_b32 s28, 0xbf68dda4
	v_pk_fma_f32 v[16:17], v[120:121], v[48:49], v[6:7] op_sel:[0,0,1] op_sel_hi:[1,1,0]
	v_pk_fma_f32 v[6:7], v[120:121], v[48:49], v[6:7] op_sel:[0,0,1] op_sel_hi:[1,1,0] neg_lo:[0,0,1] neg_hi:[0,0,1]
	s_mov_b32 s8, 0x3ed4b147
	v_mov_b32_e32 v17, v7
	s_waitcnt lgkmcnt(3)
	v_pk_mul_f32 v[6:7], v[18:19], v[50:51]
	s_mov_b32 s12, 0xbf7d64f0
	v_pk_fma_f32 v[18:19], v[118:119], v[50:51], v[6:7] op_sel:[0,0,1] op_sel_hi:[1,1,0]
	v_pk_fma_f32 v[6:7], v[118:119], v[50:51], v[6:7] op_sel:[0,0,1] op_sel_hi:[1,1,0] neg_lo:[0,0,1] neg_hi:[0,0,1]
	s_mov_b32 s10, 0xbe11bafb
	v_mov_b32_e32 v19, v7
	v_pk_mul_f32 v[6:7], v[12:13], v[52:53]
	s_mov_b32 s18, 0xbf4178ce
	v_pk_fma_f32 v[12:13], v[116:117], v[52:53], v[6:7] op_sel:[0,0,1] op_sel_hi:[1,1,0]
	v_pk_fma_f32 v[6:7], v[116:117], v[52:53], v[6:7] op_sel:[0,0,1] op_sel_hi:[1,1,0] neg_lo:[0,0,1] neg_hi:[0,0,1]
	s_mov_b32 s16, 0xbf27a4f4
	v_mov_b32_e32 v13, v7
	s_waitcnt lgkmcnt(2)
	v_pk_mul_f32 v[6:7], v[14:15], v[54:55]
	s_mov_b32 s22, 0xbe903f40
	v_pk_fma_f32 v[14:15], v[114:115], v[54:55], v[6:7] op_sel:[0,0,1] op_sel_hi:[1,1,0]
	v_pk_fma_f32 v[6:7], v[114:115], v[54:55], v[6:7] op_sel:[0,0,1] op_sel_hi:[1,1,0] neg_lo:[0,0,1] neg_hi:[0,0,1]
	s_mov_b32 s20, 0xbf75a155
	v_mov_b32_e32 v15, v7
	v_pk_mul_f32 v[6:7], v[8:9], v[56:57]
	s_waitcnt lgkmcnt(0)
	v_pk_fma_f32 v[46:47], v[112:113], v[56:57], v[6:7] op_sel:[0,0,1] op_sel_hi:[1,1,0]
	v_pk_fma_f32 v[6:7], v[112:113], v[56:57], v[6:7] op_sel:[0,0,1] op_sel_hi:[1,1,0] neg_lo:[0,0,1] neg_hi:[0,0,1]
	; wave barrier
	s_nop 0
	v_mov_b32_e32 v47, v7
	v_pk_mul_f32 v[6:7], v[10:11], v[58:59]
	s_mov_b32 s34, 0x3e903f40
	v_pk_fma_f32 v[10:11], v[110:111], v[58:59], v[6:7] op_sel:[0,0,1] op_sel_hi:[1,1,0]
	v_pk_fma_f32 v[6:7], v[110:111], v[58:59], v[6:7] op_sel:[0,0,1] op_sel_hi:[1,1,0] neg_lo:[0,0,1] neg_hi:[0,0,1]
	s_mov_b32 s30, 0x3f7d64f0
	v_mov_b32_e32 v11, v7
	v_pk_mul_f32 v[6:7], v[20:21], v[60:61]
	s_mov_b32 s24, 0x3f0a6770
	v_pk_fma_f32 v[20:21], v[108:109], v[60:61], v[6:7] op_sel:[0,0,1] op_sel_hi:[1,1,0]
	v_pk_fma_f32 v[6:7], v[108:109], v[60:61], v[6:7] op_sel:[0,0,1] op_sel_hi:[1,1,0] neg_lo:[0,0,1] neg_hi:[0,0,1]
	s_mov_b32 s26, 0x3f68dda4
	v_mov_b32_e32 v21, v7
	v_pk_mul_f32 v[6:7], v[22:23], v[62:63]
	v_pk_add_f32 v[50:51], v[124:125], v[20:21]
	v_pk_fma_f32 v[8:9], v[106:107], v[62:63], v[6:7] op_sel:[0,0,1] op_sel_hi:[1,1,0]
	v_pk_fma_f32 v[6:7], v[106:107], v[62:63], v[6:7] op_sel:[0,0,1] op_sel_hi:[1,1,0] neg_lo:[0,0,1] neg_hi:[0,0,1]
	s_nop 0
	v_mov_b32_e32 v9, v7
	v_pk_mul_f32 v[6:7], v[4:5], v[2:3] op_sel:[1,0]
	s_nop 0
	v_pk_fma_f32 v[22:23], v[4:5], v[2:3], v[6:7] op_sel:[0,0,1] op_sel_hi:[1,1,0]
	v_pk_fma_f32 v[2:3], v[4:5], v[2:3], v[6:7] op_sel:[0,0,1] op_sel_hi:[0,1,0] neg_lo:[0,0,1] neg_hi:[0,0,1]
	v_mov_b32_e32 v23, v3
	v_pk_add_f32 v[2:3], v[0:1], v[22:23]
	v_pk_add_f32 v[6:7], v[22:23], v[8:9]
	;; [unrolled: 1-line block ×3, first 2 shown]
	v_pk_add_f32 v[22:23], v[22:23], v[8:9] neg_lo:[0,1] neg_hi:[0,1]
	v_pk_add_f32 v[2:3], v[2:3], v[16:17]
	s_nop 0
	v_pk_add_f32 v[2:3], v[2:3], v[18:19]
	s_nop 0
	;; [unrolled: 2-line block ×6, first 2 shown]
	v_pk_add_f32 v[2:3], v[2:3], v[20:21]
	v_pk_add_f32 v[20:21], v[124:125], v[20:21] neg_lo:[0,1] neg_hi:[0,1]
	v_pk_add_f32 v[4:5], v[2:3], v[8:9]
	v_pk_mul_f32 v[8:9], v[22:23], s[14:15] op_sel_hi:[1,0]
	v_pk_mul_f32 v[52:53], v[20:21], s[28:29] op_sel_hi:[1,0]
	v_pk_fma_f32 v[2:3], v[6:7], s[0:1], v[8:9] op_sel:[0,0,1] op_sel_hi:[1,0,0]
	v_pk_fma_f32 v[8:9], v[6:7], s[0:1], v[8:9] op_sel:[0,0,1] op_sel_hi:[1,0,0] neg_lo:[0,0,1] neg_hi:[0,0,1]
	v_mov_b32_e32 v48, v2
	v_mov_b32_e32 v49, v9
	v_pk_fma_f32 v[54:55], v[50:51], s[8:9], v[52:53] op_sel:[0,0,1] op_sel_hi:[1,0,0]
	v_pk_fma_f32 v[52:53], v[50:51], s[8:9], v[52:53] op_sel:[0,0,1] op_sel_hi:[1,0,0] neg_lo:[0,0,1] neg_hi:[0,0,1]
	v_pk_add_f32 v[48:49], v[0:1], v[48:49]
	v_mov_b32_e32 v56, v54
	v_mov_b32_e32 v57, v53
	v_pk_add_f32 v[48:49], v[56:57], v[48:49]
	v_pk_add_f32 v[56:57], v[16:17], v[10:11]
	v_pk_add_f32 v[10:11], v[16:17], v[10:11] neg_lo:[0,1] neg_hi:[0,1]
	v_pk_mul_f32 v[112:113], v[20:21], s[18:19] op_sel_hi:[1,0]
	v_pk_mul_f32 v[16:17], v[10:11], s[12:13] op_sel_hi:[1,0]
	v_pk_fma_f32 v[114:115], v[50:51], s[16:17], v[112:113] op_sel:[0,0,1] op_sel_hi:[1,0,0]
	v_pk_fma_f32 v[58:59], v[56:57], s[10:11], v[16:17] op_sel:[0,0,1] op_sel_hi:[1,0,0]
	v_pk_fma_f32 v[16:17], v[56:57], s[10:11], v[16:17] op_sel:[0,0,1] op_sel_hi:[1,0,0] neg_lo:[0,0,1] neg_hi:[0,0,1]
	v_mov_b32_e32 v60, v58
	v_mov_b32_e32 v61, v17
	v_pk_add_f32 v[48:49], v[60:61], v[48:49]
	v_pk_add_f32 v[60:61], v[18:19], v[46:47]
	v_pk_add_f32 v[18:19], v[18:19], v[46:47] neg_lo:[0,1] neg_hi:[0,1]
	v_pk_fma_f32 v[112:113], v[50:51], s[16:17], v[112:113] op_sel:[0,0,1] op_sel_hi:[1,0,0] neg_lo:[0,0,1] neg_hi:[0,0,1]
	v_pk_mul_f32 v[46:47], v[18:19], s[18:19] op_sel_hi:[1,0]
	v_mov_b32_e32 v116, v114
	v_pk_fma_f32 v[62:63], v[60:61], s[16:17], v[46:47] op_sel:[0,0,1] op_sel_hi:[1,0,0]
	v_pk_fma_f32 v[46:47], v[60:61], s[16:17], v[46:47] op_sel:[0,0,1] op_sel_hi:[1,0,0] neg_lo:[0,0,1] neg_hi:[0,0,1]
	v_mov_b32_e32 v106, v62
	v_mov_b32_e32 v107, v47
	v_pk_add_f32 v[48:49], v[106:107], v[48:49]
	v_pk_add_f32 v[106:107], v[12:13], v[14:15]
	v_pk_add_f32 v[12:13], v[12:13], v[14:15] neg_lo:[0,1] neg_hi:[0,1]
	v_mov_b32_e32 v117, v113
	v_pk_mul_f32 v[14:15], v[12:13], s[22:23] op_sel_hi:[1,0]
	v_pk_mul_f32 v[134:135], v[20:21], s[34:35] op_sel_hi:[1,0]
	v_pk_fma_f32 v[108:109], v[106:107], s[20:21], v[14:15] op_sel:[0,0,1] op_sel_hi:[1,0,0]
	v_pk_fma_f32 v[14:15], v[106:107], s[20:21], v[14:15] op_sel:[0,0,1] op_sel_hi:[1,0,0] neg_lo:[0,0,1] neg_hi:[0,0,1]
	v_mov_b32_e32 v110, v108
	v_mov_b32_e32 v111, v15
	v_pk_add_f32 v[48:49], v[110:111], v[48:49]
	ds_write2_b64 v79, v[4:5], v[48:49] offset1:4
	v_pk_mul_f32 v[4:5], v[22:23], s[28:29] op_sel_hi:[1,0]
	v_pk_fma_f32 v[136:137], v[50:51], s[20:21], v[134:135] op_sel:[0,0,1] op_sel_hi:[1,0,0]
	v_pk_fma_f32 v[48:49], v[6:7], s[8:9], v[4:5] op_sel:[0,0,1] op_sel_hi:[1,0,0]
	v_pk_fma_f32 v[110:111], v[6:7], s[8:9], v[4:5] op_sel:[0,0,1] op_sel_hi:[1,0,0] neg_lo:[0,0,1] neg_hi:[0,0,1]
	v_mov_b32_e32 v4, v48
	v_mov_b32_e32 v5, v111
	v_pk_add_f32 v[4:5], v[0:1], v[4:5]
	v_pk_fma_f32 v[134:135], v[50:51], s[20:21], v[134:135] op_sel:[0,0,1] op_sel_hi:[1,0,0] neg_lo:[0,0,1] neg_hi:[0,0,1]
	v_pk_add_f32 v[4:5], v[116:117], v[4:5]
	v_pk_mul_f32 v[116:117], v[10:11], s[34:35] op_sel_hi:[1,0]
	v_mov_b32_e32 v138, v136
	v_pk_fma_f32 v[118:119], v[56:57], s[20:21], v[116:117] op_sel:[0,0,1] op_sel_hi:[1,0,0]
	v_pk_fma_f32 v[116:117], v[56:57], s[20:21], v[116:117] op_sel:[0,0,1] op_sel_hi:[1,0,0] neg_lo:[0,0,1] neg_hi:[0,0,1]
	v_mov_b32_e32 v120, v118
	v_mov_b32_e32 v121, v117
	v_pk_add_f32 v[4:5], v[120:121], v[4:5]
	v_pk_mul_f32 v[120:121], v[18:19], s[30:31] op_sel_hi:[1,0]
	v_mov_b32_e32 v139, v135
	v_pk_fma_f32 v[122:123], v[60:61], s[10:11], v[120:121] op_sel:[0,0,1] op_sel_hi:[1,0,0]
	v_pk_fma_f32 v[120:121], v[60:61], s[10:11], v[120:121] op_sel:[0,0,1] op_sel_hi:[1,0,0] neg_lo:[0,0,1] neg_hi:[0,0,1]
	v_mov_b32_e32 v124, v122
	v_mov_b32_e32 v125, v121
	v_pk_add_f32 v[4:5], v[124:125], v[4:5]
	v_pk_mul_f32 v[124:125], v[12:13], s[24:25] op_sel_hi:[1,0]
	v_pk_mul_f32 v[152:153], v[20:21], s[30:31] op_sel_hi:[1,0]
	v_pk_fma_f32 v[126:127], v[106:107], s[0:1], v[124:125] op_sel:[0,0,1] op_sel_hi:[1,0,0]
	v_pk_fma_f32 v[124:125], v[106:107], s[0:1], v[124:125] op_sel:[0,0,1] op_sel_hi:[1,0,0] neg_lo:[0,0,1] neg_hi:[0,0,1]
	v_mov_b32_e32 v128, v126
	v_mov_b32_e32 v129, v125
	v_pk_add_f32 v[4:5], v[128:129], v[4:5]
	v_pk_mul_f32 v[128:129], v[22:23], s[12:13] op_sel_hi:[1,0]
	v_pk_fma_f32 v[154:155], v[50:51], s[10:11], v[152:153] op_sel:[0,0,1] op_sel_hi:[1,0,0]
	v_pk_fma_f32 v[130:131], v[6:7], s[10:11], v[128:129] op_sel:[0,0,1] op_sel_hi:[1,0,0]
	v_pk_fma_f32 v[128:129], v[6:7], s[10:11], v[128:129] op_sel:[0,0,1] op_sel_hi:[1,0,0] neg_lo:[0,0,1] neg_hi:[0,0,1]
	v_mov_b32_e32 v132, v130
	v_mov_b32_e32 v133, v129
	v_pk_add_f32 v[132:133], v[0:1], v[132:133]
	v_pk_fma_f32 v[152:153], v[50:51], s[10:11], v[152:153] op_sel:[0,0,1] op_sel_hi:[1,0,0] neg_lo:[0,0,1] neg_hi:[0,0,1]
	v_pk_add_f32 v[132:133], v[138:139], v[132:133]
	v_pk_mul_f32 v[138:139], v[10:11], s[26:27] op_sel_hi:[1,0]
	v_mov_b32_e32 v156, v154
	v_pk_fma_f32 v[140:141], v[56:57], s[8:9], v[138:139] op_sel:[0,0,1] op_sel_hi:[1,0,0]
	v_pk_fma_f32 v[138:139], v[56:57], s[8:9], v[138:139] op_sel:[0,0,1] op_sel_hi:[1,0,0] neg_lo:[0,0,1] neg_hi:[0,0,1]
	v_mov_b32_e32 v142, v140
	v_mov_b32_e32 v143, v139
	v_pk_add_f32 v[132:133], v[142:143], v[132:133]
	v_pk_mul_f32 v[142:143], v[18:19], s[14:15] op_sel_hi:[1,0]
	v_mov_b32_e32 v157, v153
	v_pk_fma_f32 v[144:145], v[60:61], s[0:1], v[142:143] op_sel:[0,0,1] op_sel_hi:[1,0,0]
	v_pk_fma_f32 v[142:143], v[60:61], s[0:1], v[142:143] op_sel:[0,0,1] op_sel_hi:[1,0,0] neg_lo:[0,0,1] neg_hi:[0,0,1]
	v_mov_b32_e32 v146, v144
	v_mov_b32_e32 v147, v143
	v_pk_add_f32 v[132:133], v[146:147], v[132:133]
	v_pk_mul_f32 v[146:147], v[12:13], s[18:19] op_sel_hi:[1,0]
	v_pk_mul_f32 v[20:21], v[20:21], s[24:25] op_sel_hi:[1,0]
	v_pk_fma_f32 v[148:149], v[106:107], s[16:17], v[146:147] op_sel:[0,0,1] op_sel_hi:[1,0,0]
	v_pk_fma_f32 v[146:147], v[106:107], s[16:17], v[146:147] op_sel:[0,0,1] op_sel_hi:[1,0,0] neg_lo:[0,0,1] neg_hi:[0,0,1]
	v_mov_b32_e32 v150, v148
	v_mov_b32_e32 v151, v147
	v_pk_add_f32 v[132:133], v[150:151], v[132:133]
	ds_write2_b64 v79, v[4:5], v[132:133] offset0:8 offset1:12
	v_pk_mul_f32 v[4:5], v[22:23], s[18:19] op_sel_hi:[1,0]
	v_pk_mul_f32 v[22:23], v[22:23], s[22:23] op_sel_hi:[1,0]
	v_pk_fma_f32 v[132:133], v[6:7], s[16:17], v[4:5] op_sel:[0,0,1] op_sel_hi:[1,0,0]
	v_pk_fma_f32 v[150:151], v[6:7], s[16:17], v[4:5] op_sel:[0,0,1] op_sel_hi:[1,0,0] neg_lo:[0,0,1] neg_hi:[0,0,1]
	v_mov_b32_e32 v4, v132
	v_mov_b32_e32 v5, v151
	v_pk_add_f32 v[4:5], v[0:1], v[4:5]
	v_mov_b32_e32 v151, v133
	v_pk_add_f32 v[4:5], v[156:157], v[4:5]
	v_pk_mul_f32 v[156:157], v[10:11], s[14:15] op_sel_hi:[1,0]
	v_pk_mul_f32 v[10:11], v[10:11], s[18:19] op_sel_hi:[1,0]
	v_pk_fma_f32 v[158:159], v[56:57], s[0:1], v[156:157] op_sel:[0,0,1] op_sel_hi:[1,0,0]
	v_pk_fma_f32 v[156:157], v[56:57], s[0:1], v[156:157] op_sel:[0,0,1] op_sel_hi:[1,0,0] neg_lo:[0,0,1] neg_hi:[0,0,1]
	v_mov_b32_e32 v160, v158
	v_mov_b32_e32 v161, v157
	v_pk_add_f32 v[4:5], v[160:161], v[4:5]
	v_pk_mul_f32 v[160:161], v[18:19], s[22:23] op_sel_hi:[1,0]
	v_pk_mul_f32 v[18:19], v[18:19], s[26:27] op_sel_hi:[1,0]
	v_pk_fma_f32 v[162:163], v[60:61], s[20:21], v[160:161] op_sel:[0,0,1] op_sel_hi:[1,0,0]
	v_pk_fma_f32 v[160:161], v[60:61], s[20:21], v[160:161] op_sel:[0,0,1] op_sel_hi:[1,0,0] neg_lo:[0,0,1] neg_hi:[0,0,1]
	v_mov_b32_e32 v164, v162
	;; [unrolled: 7-line block ×3, first 2 shown]
	v_mov_b32_e32 v169, v165
	v_pk_add_f32 v[4:5], v[168:169], v[4:5]
	v_pk_fma_f32 v[168:169], v[6:7], s[20:21], v[22:23] op_sel:[0,0,1] op_sel_hi:[1,0,0]
	v_pk_fma_f32 v[6:7], v[6:7], s[20:21], v[22:23] op_sel:[0,0,1] op_sel_hi:[1,0,0] neg_lo:[0,0,1] neg_hi:[0,0,1]
	v_pk_fma_f32 v[22:23], v[50:51], s[0:1], v[20:21] op_sel:[0,0,1] op_sel_hi:[1,0,0]
	v_pk_fma_f32 v[20:21], v[50:51], s[0:1], v[20:21] op_sel:[0,0,1] op_sel_hi:[1,0,0] neg_lo:[0,0,1] neg_hi:[0,0,1]
	v_mov_b32_e32 v50, v168
	v_mov_b32_e32 v51, v7
	v_pk_add_f32 v[50:51], v[0:1], v[50:51]
	v_mov_b32_e32 v170, v22
	v_mov_b32_e32 v171, v21
	v_pk_add_f32 v[50:51], v[170:171], v[50:51]
	v_pk_fma_f32 v[170:171], v[56:57], s[16:17], v[10:11] op_sel:[0,0,1] op_sel_hi:[1,0,0]
	v_pk_fma_f32 v[10:11], v[56:57], s[16:17], v[10:11] op_sel:[0,0,1] op_sel_hi:[1,0,0] neg_lo:[0,0,1] neg_hi:[0,0,1]
	v_mov_b32_e32 v56, v170
	v_mov_b32_e32 v57, v11
	;; [unrolled: 1-line block ×3, first 2 shown]
	v_pk_add_f32 v[50:51], v[56:57], v[50:51]
	v_pk_fma_f32 v[56:57], v[60:61], s[8:9], v[18:19] op_sel:[0,0,1] op_sel_hi:[1,0,0]
	v_pk_fma_f32 v[18:19], v[60:61], s[8:9], v[18:19] op_sel:[0,0,1] op_sel_hi:[1,0,0] neg_lo:[0,0,1] neg_hi:[0,0,1]
	v_mov_b32_e32 v21, v23
	v_pk_add_f32 v[6:7], v[0:1], v[6:7]
	v_mov_b32_e32 v60, v56
	v_mov_b32_e32 v61, v19
	v_pk_add_f32 v[20:21], v[20:21], v[6:7]
	v_mov_b32_e32 v11, v171
	v_pk_add_f32 v[50:51], v[60:61], v[50:51]
	v_pk_fma_f32 v[60:61], v[106:107], s[10:11], v[12:13] op_sel:[0,0,1] op_sel_hi:[1,0,0]
	v_pk_fma_f32 v[12:13], v[106:107], s[10:11], v[12:13] op_sel:[0,0,1] op_sel_hi:[1,0,0] neg_lo:[0,0,1] neg_hi:[0,0,1]
	v_pk_add_f32 v[10:11], v[10:11], v[20:21]
	v_mov_b32_e32 v19, v57
	v_mov_b32_e32 v107, v13
	v_pk_add_f32 v[10:11], v[18:19], v[10:11]
	v_mov_b32_e32 v13, v61
	v_pk_add_f32 v[10:11], v[12:13], v[10:11]
	v_pk_add_f32 v[12:13], v[0:1], v[150:151]
	v_mov_b32_e32 v153, v155
	v_pk_add_f32 v[12:13], v[152:153], v[12:13]
	v_mov_b32_e32 v157, v159
	;; [unrolled: 2-line block ×5, first 2 shown]
	v_mov_b32_e32 v111, v49
	v_mov_b32_e32 v9, v3
	ds_write2_b64 v79, v[10:11], v[12:13] offset0:24 offset1:28
	v_pk_add_f32 v[10:11], v[0:1], v[128:129]
	v_mov_b32_e32 v135, v137
	v_pk_add_f32 v[12:13], v[0:1], v[110:111]
	v_mov_b32_e32 v113, v115
	;; [unrolled: 2-line block ×9, first 2 shown]
	v_mov_b32_e32 v106, v60
	v_pk_add_f32 v[10:11], v[142:143], v[10:11]
	v_mov_b32_e32 v147, v149
	v_pk_add_f32 v[12:13], v[120:121], v[12:13]
	;; [unrolled: 2-line block ×4, first 2 shown]
	v_pk_add_f32 v[10:11], v[146:147], v[10:11]
	v_pk_add_f32 v[12:13], v[124:125], v[12:13]
	;; [unrolled: 1-line block ×3, first 2 shown]
	ds_write2_b64 v79, v[4:5], v[50:51] offset0:16 offset1:20
	ds_write2_b64 v79, v[10:11], v[12:13] offset0:32 offset1:36
	ds_write_b64 v79, v[0:1] offset:320
	s_waitcnt lgkmcnt(0)
	; wave barrier
	s_waitcnt lgkmcnt(0)
	ds_read2_b64 v[8:11], v64 offset0:88 offset1:132
	ds_read2_b64 v[0:3], v64 offset1:44
	ds_read2_b64 v[12:15], v64 offset0:176 offset1:220
	ds_read2_b64 v[16:19], v44 offset0:8 offset1:52
	;; [unrolled: 1-line block ×3, first 2 shown]
	ds_read_b64 v[46:47], v64 offset:3520
	s_waitcnt lgkmcnt(5)
	v_pk_mul_f32 v[26:27], v[26:27], v[8:9]
	v_mov_b32_e32 v4, s2
	v_pk_fma_f32 v[48:49], v[104:105], v[8:9], v[26:27] op_sel:[0,0,1] op_sel_hi:[1,1,0]
	v_pk_fma_f32 v[8:9], v[104:105], v[8:9], v[26:27] op_sel:[0,0,1] op_sel_hi:[1,1,0] neg_lo:[0,0,1] neg_hi:[0,0,1]
	v_mov_b32_e32 v5, s3
	v_mov_b32_e32 v49, v9
	v_pk_mul_f32 v[8:9], v[32:33], v[10:11]
	v_mad_u64_u32 v[6:7], s[2:3], s6, v78, 0
	v_pk_fma_f32 v[26:27], v[102:103], v[10:11], v[8:9] op_sel:[0,0,1] op_sel_hi:[1,1,0]
	v_pk_fma_f32 v[8:9], v[102:103], v[10:11], v[8:9] op_sel:[0,0,1] op_sel_hi:[1,1,0] neg_lo:[0,0,1] neg_hi:[0,0,1]
	s_mul_hi_u32 s6, s4, 0xfffffec1
	v_mov_b32_e32 v27, v9
	s_waitcnt lgkmcnt(3)
	v_pk_mul_f32 v[8:9], v[34:35], v[12:13]
	s_sub_i32 s6, s6, s4
	v_pk_fma_f32 v[10:11], v[100:101], v[12:13], v[8:9] op_sel:[0,0,1] op_sel_hi:[1,1,0]
	v_pk_fma_f32 v[8:9], v[100:101], v[12:13], v[8:9] op_sel:[0,0,1] op_sel_hi:[1,1,0] neg_lo:[0,0,1] neg_hi:[0,0,1]
	s_nop 0
	v_mov_b32_e32 v11, v9
	v_pk_mul_f32 v[8:9], v[28:29], v[14:15]
	s_nop 0
	v_pk_fma_f32 v[12:13], v[90:91], v[14:15], v[8:9] op_sel:[0,0,1] op_sel_hi:[1,1,0]
	v_pk_fma_f32 v[8:9], v[90:91], v[14:15], v[8:9] op_sel:[0,0,1] op_sel_hi:[1,1,0] neg_lo:[0,0,1] neg_hi:[0,0,1]
	s_nop 0
	v_mov_b32_e32 v13, v9
	s_waitcnt lgkmcnt(2)
	v_pk_mul_f32 v[8:9], v[30:31], v[16:17]
	s_nop 0
	v_pk_fma_f32 v[14:15], v[88:89], v[16:17], v[8:9] op_sel:[0,0,1] op_sel_hi:[1,1,0]
	v_pk_fma_f32 v[8:9], v[88:89], v[16:17], v[8:9] op_sel:[0,0,1] op_sel_hi:[1,1,0] neg_lo:[0,0,1] neg_hi:[0,0,1]
	s_nop 0
	v_mov_b32_e32 v15, v9
	v_pk_mul_f32 v[8:9], v[36:37], v[18:19]
	s_nop 0
	v_pk_fma_f32 v[16:17], v[98:99], v[18:19], v[8:9] op_sel:[0,0,1] op_sel_hi:[1,1,0]
	v_pk_fma_f32 v[8:9], v[98:99], v[18:19], v[8:9] op_sel:[0,0,1] op_sel_hi:[1,1,0] neg_lo:[0,0,1] neg_hi:[0,0,1]
	s_nop 0
	v_mov_b32_e32 v17, v9
	s_waitcnt lgkmcnt(1)
	v_pk_mul_f32 v[8:9], v[38:39], v[20:21]
	s_nop 0
	v_pk_fma_f32 v[18:19], v[96:97], v[20:21], v[8:9] op_sel:[0,0,1] op_sel_hi:[1,1,0]
	v_pk_fma_f32 v[8:9], v[96:97], v[20:21], v[8:9] op_sel:[0,0,1] op_sel_hi:[1,1,0] neg_lo:[0,0,1] neg_hi:[0,0,1]
	s_nop 0
	v_mov_b32_e32 v19, v9
	v_pk_mul_f32 v[8:9], v[40:41], v[22:23]
	s_nop 0
	v_pk_fma_f32 v[20:21], v[94:95], v[22:23], v[8:9] op_sel:[0,0,1] op_sel_hi:[1,1,0]
	v_pk_fma_f32 v[8:9], v[94:95], v[22:23], v[8:9] op_sel:[0,0,1] op_sel_hi:[1,1,0] neg_lo:[0,0,1] neg_hi:[0,0,1]
	s_nop 0
	v_mov_b32_e32 v21, v9
	s_waitcnt lgkmcnt(0)
	v_pk_mul_f32 v[8:9], v[42:43], v[46:47]
	v_pk_add_f32 v[32:33], v[48:49], v[20:21]
	v_pk_fma_f32 v[22:23], v[92:93], v[46:47], v[8:9] op_sel:[0,0,1] op_sel_hi:[1,1,0]
	v_pk_fma_f32 v[8:9], v[92:93], v[46:47], v[8:9] op_sel:[0,0,1] op_sel_hi:[1,1,0] neg_lo:[0,0,1] neg_hi:[0,0,1]
	s_nop 0
	v_mov_b32_e32 v23, v9
	v_pk_mul_f32 v[8:9], v[24:25], v[2:3] op_sel:[1,0]
	s_nop 0
	v_pk_fma_f32 v[28:29], v[24:25], v[2:3], v[8:9] op_sel:[0,0,1] op_sel_hi:[1,1,0]
	v_pk_fma_f32 v[2:3], v[24:25], v[2:3], v[8:9] op_sel:[0,0,1] op_sel_hi:[0,1,0] neg_lo:[0,0,1] neg_hi:[0,0,1]
	v_mov_b32_e32 v29, v3
	v_pk_add_f32 v[2:3], v[0:1], v[28:29]
	v_pk_add_f32 v[8:9], v[28:29], v[22:23]
	;; [unrolled: 1-line block ×3, first 2 shown]
	s_nop 0
	v_pk_add_f32 v[2:3], v[2:3], v[26:27]
	s_nop 0
	v_pk_add_f32 v[2:3], v[2:3], v[10:11]
	;; [unrolled: 2-line block ×7, first 2 shown]
	v_pk_add_f32 v[20:21], v[48:49], v[20:21] neg_lo:[0,1] neg_hi:[0,1]
	v_pk_add_f32 v[2:3], v[2:3], v[22:23]
	v_pk_add_f32 v[22:23], v[28:29], v[22:23] neg_lo:[0,1] neg_hi:[0,1]
	v_pk_mul_f32 v[34:35], v[20:21], s[28:29] op_sel_hi:[1,0]
	v_pk_mul_f32 v[24:25], v[22:23], s[14:15] op_sel_hi:[1,0]
	v_pk_fma_f32 v[36:37], v[32:33], s[8:9], v[34:35] op_sel:[0,0,1] op_sel_hi:[1,0,0]
	v_pk_fma_f32 v[28:29], v[8:9], s[0:1], v[24:25] op_sel:[0,0,1] op_sel_hi:[1,0,0]
	v_pk_fma_f32 v[24:25], v[8:9], s[0:1], v[24:25] op_sel:[0,0,1] op_sel_hi:[1,0,0] neg_lo:[0,0,1] neg_hi:[0,0,1]
	v_mov_b32_e32 v30, v28
	v_mov_b32_e32 v31, v25
	v_pk_fma_f32 v[34:35], v[32:33], s[8:9], v[34:35] op_sel:[0,0,1] op_sel_hi:[1,0,0] neg_lo:[0,0,1] neg_hi:[0,0,1]
	v_pk_add_f32 v[30:31], v[0:1], v[30:31]
	v_mov_b32_e32 v38, v36
	v_mov_b32_e32 v39, v35
	v_pk_add_f32 v[30:31], v[38:39], v[30:31]
	v_pk_add_f32 v[38:39], v[26:27], v[18:19]
	v_pk_add_f32 v[18:19], v[26:27], v[18:19] neg_lo:[0,1] neg_hi:[0,1]
	v_pk_mul_f32 v[54:55], v[20:21], s[18:19] op_sel_hi:[1,0]
	v_pk_mul_f32 v[26:27], v[18:19], s[12:13] op_sel_hi:[1,0]
	v_pk_fma_f32 v[56:57], v[32:33], s[16:17], v[54:55] op_sel:[0,0,1] op_sel_hi:[1,0,0]
	v_pk_fma_f32 v[40:41], v[38:39], s[10:11], v[26:27] op_sel:[0,0,1] op_sel_hi:[1,0,0]
	v_pk_fma_f32 v[26:27], v[38:39], s[10:11], v[26:27] op_sel:[0,0,1] op_sel_hi:[1,0,0] neg_lo:[0,0,1] neg_hi:[0,0,1]
	v_mov_b32_e32 v42, v40
	v_mov_b32_e32 v43, v27
	v_pk_add_f32 v[30:31], v[42:43], v[30:31]
	v_pk_add_f32 v[42:43], v[10:11], v[16:17]
	v_pk_add_f32 v[10:11], v[10:11], v[16:17] neg_lo:[0,1] neg_hi:[0,1]
	v_pk_fma_f32 v[54:55], v[32:33], s[16:17], v[54:55] op_sel:[0,0,1] op_sel_hi:[1,0,0] neg_lo:[0,0,1] neg_hi:[0,0,1]
	v_pk_mul_f32 v[16:17], v[10:11], s[18:19] op_sel_hi:[1,0]
	v_mov_b32_e32 v58, v56
	v_pk_fma_f32 v[46:47], v[42:43], s[16:17], v[16:17] op_sel:[0,0,1] op_sel_hi:[1,0,0]
	v_pk_fma_f32 v[16:17], v[42:43], s[16:17], v[16:17] op_sel:[0,0,1] op_sel_hi:[1,0,0] neg_lo:[0,0,1] neg_hi:[0,0,1]
	v_mov_b32_e32 v48, v46
	v_mov_b32_e32 v49, v17
	v_pk_add_f32 v[30:31], v[48:49], v[30:31]
	v_pk_add_f32 v[48:49], v[12:13], v[14:15]
	v_pk_add_f32 v[12:13], v[12:13], v[14:15] neg_lo:[0,1] neg_hi:[0,1]
	v_mov_b32_e32 v59, v55
	v_pk_mul_f32 v[14:15], v[12:13], s[22:23] op_sel_hi:[1,0]
	v_pk_mul_f32 v[100:101], v[20:21], s[34:35] op_sel_hi:[1,0]
	v_pk_fma_f32 v[50:51], v[48:49], s[20:21], v[14:15] op_sel:[0,0,1] op_sel_hi:[1,0,0]
	v_pk_fma_f32 v[14:15], v[48:49], s[20:21], v[14:15] op_sel:[0,0,1] op_sel_hi:[1,0,0] neg_lo:[0,0,1] neg_hi:[0,0,1]
	v_mov_b32_e32 v52, v50
	v_mov_b32_e32 v53, v15
	v_pk_add_f32 v[30:31], v[52:53], v[30:31]
	ds_write2_b64 v64, v[2:3], v[30:31] offset1:44
	v_pk_mul_f32 v[2:3], v[22:23], s[28:29] op_sel_hi:[1,0]
	v_pk_fma_f32 v[102:103], v[32:33], s[20:21], v[100:101] op_sel:[0,0,1] op_sel_hi:[1,0,0]
	v_pk_fma_f32 v[30:31], v[8:9], s[8:9], v[2:3] op_sel:[0,0,1] op_sel_hi:[1,0,0]
	v_pk_fma_f32 v[2:3], v[8:9], s[8:9], v[2:3] op_sel:[0,0,1] op_sel_hi:[1,0,0] neg_lo:[0,0,1] neg_hi:[0,0,1]
	v_mov_b32_e32 v52, v30
	v_mov_b32_e32 v53, v3
	v_pk_add_f32 v[52:53], v[0:1], v[52:53]
	v_pk_fma_f32 v[100:101], v[32:33], s[20:21], v[100:101] op_sel:[0,0,1] op_sel_hi:[1,0,0] neg_lo:[0,0,1] neg_hi:[0,0,1]
	v_pk_add_f32 v[52:53], v[58:59], v[52:53]
	v_pk_mul_f32 v[58:59], v[18:19], s[34:35] op_sel_hi:[1,0]
	v_mov_b32_e32 v104, v102
	v_pk_fma_f32 v[60:61], v[38:39], s[20:21], v[58:59] op_sel:[0,0,1] op_sel_hi:[1,0,0]
	v_pk_fma_f32 v[58:59], v[38:39], s[20:21], v[58:59] op_sel:[0,0,1] op_sel_hi:[1,0,0] neg_lo:[0,0,1] neg_hi:[0,0,1]
	v_mov_b32_e32 v62, v60
	v_mov_b32_e32 v63, v59
	v_pk_add_f32 v[52:53], v[62:63], v[52:53]
	v_pk_mul_f32 v[62:63], v[10:11], s[30:31] op_sel_hi:[1,0]
	v_mov_b32_e32 v105, v101
	v_pk_fma_f32 v[88:89], v[42:43], s[10:11], v[62:63] op_sel:[0,0,1] op_sel_hi:[1,0,0]
	v_pk_fma_f32 v[62:63], v[42:43], s[10:11], v[62:63] op_sel:[0,0,1] op_sel_hi:[1,0,0] neg_lo:[0,0,1] neg_hi:[0,0,1]
	v_mov_b32_e32 v90, v88
	v_mov_b32_e32 v91, v63
	v_pk_add_f32 v[52:53], v[90:91], v[52:53]
	v_pk_mul_f32 v[90:91], v[12:13], s[24:25] op_sel_hi:[1,0]
	v_pk_mul_f32 v[118:119], v[20:21], s[30:31] op_sel_hi:[1,0]
	v_pk_fma_f32 v[92:93], v[48:49], s[0:1], v[90:91] op_sel:[0,0,1] op_sel_hi:[1,0,0]
	v_pk_fma_f32 v[90:91], v[48:49], s[0:1], v[90:91] op_sel:[0,0,1] op_sel_hi:[1,0,0] neg_lo:[0,0,1] neg_hi:[0,0,1]
	v_mov_b32_e32 v94, v92
	v_mov_b32_e32 v95, v91
	v_pk_add_f32 v[52:53], v[94:95], v[52:53]
	v_pk_mul_f32 v[94:95], v[22:23], s[12:13] op_sel_hi:[1,0]
	v_pk_fma_f32 v[120:121], v[32:33], s[10:11], v[118:119] op_sel:[0,0,1] op_sel_hi:[1,0,0]
	v_pk_fma_f32 v[96:97], v[8:9], s[10:11], v[94:95] op_sel:[0,0,1] op_sel_hi:[1,0,0]
	v_pk_fma_f32 v[94:95], v[8:9], s[10:11], v[94:95] op_sel:[0,0,1] op_sel_hi:[1,0,0] neg_lo:[0,0,1] neg_hi:[0,0,1]
	v_mov_b32_e32 v98, v96
	v_mov_b32_e32 v99, v95
	v_pk_add_f32 v[98:99], v[0:1], v[98:99]
	v_pk_fma_f32 v[118:119], v[32:33], s[10:11], v[118:119] op_sel:[0,0,1] op_sel_hi:[1,0,0] neg_lo:[0,0,1] neg_hi:[0,0,1]
	v_pk_add_f32 v[98:99], v[104:105], v[98:99]
	v_pk_mul_f32 v[104:105], v[18:19], s[26:27] op_sel_hi:[1,0]
	v_mov_b32_e32 v122, v120
	v_pk_fma_f32 v[106:107], v[38:39], s[8:9], v[104:105] op_sel:[0,0,1] op_sel_hi:[1,0,0]
	v_pk_fma_f32 v[104:105], v[38:39], s[8:9], v[104:105] op_sel:[0,0,1] op_sel_hi:[1,0,0] neg_lo:[0,0,1] neg_hi:[0,0,1]
	v_mov_b32_e32 v108, v106
	v_mov_b32_e32 v109, v105
	v_pk_add_f32 v[98:99], v[108:109], v[98:99]
	v_pk_mul_f32 v[108:109], v[10:11], s[14:15] op_sel_hi:[1,0]
	v_mov_b32_e32 v123, v119
	v_pk_fma_f32 v[110:111], v[42:43], s[0:1], v[108:109] op_sel:[0,0,1] op_sel_hi:[1,0,0]
	v_pk_fma_f32 v[108:109], v[42:43], s[0:1], v[108:109] op_sel:[0,0,1] op_sel_hi:[1,0,0] neg_lo:[0,0,1] neg_hi:[0,0,1]
	v_mov_b32_e32 v112, v110
	v_mov_b32_e32 v113, v109
	v_pk_add_f32 v[98:99], v[112:113], v[98:99]
	v_pk_mul_f32 v[112:113], v[12:13], s[18:19] op_sel_hi:[1,0]
	v_pk_mul_f32 v[20:21], v[20:21], s[24:25] op_sel_hi:[1,0]
	v_pk_fma_f32 v[114:115], v[48:49], s[16:17], v[112:113] op_sel:[0,0,1] op_sel_hi:[1,0,0]
	v_pk_fma_f32 v[112:113], v[48:49], s[16:17], v[112:113] op_sel:[0,0,1] op_sel_hi:[1,0,0] neg_lo:[0,0,1] neg_hi:[0,0,1]
	v_mov_b32_e32 v116, v114
	v_mov_b32_e32 v117, v113
	v_pk_add_f32 v[98:99], v[116:117], v[98:99]
	ds_write2_b64 v64, v[52:53], v[98:99] offset0:88 offset1:132
	v_pk_mul_f32 v[52:53], v[22:23], s[18:19] op_sel_hi:[1,0]
	v_pk_mul_f32 v[22:23], v[22:23], s[22:23] op_sel_hi:[1,0]
	v_pk_fma_f32 v[98:99], v[8:9], s[16:17], v[52:53] op_sel:[0,0,1] op_sel_hi:[1,0,0]
	v_pk_fma_f32 v[52:53], v[8:9], s[16:17], v[52:53] op_sel:[0,0,1] op_sel_hi:[1,0,0] neg_lo:[0,0,1] neg_hi:[0,0,1]
	v_mov_b32_e32 v116, v98
	v_mov_b32_e32 v117, v53
	v_pk_add_f32 v[116:117], v[0:1], v[116:117]
	v_pk_fma_f32 v[136:137], v[32:33], s[0:1], v[20:21] op_sel:[0,0,1] op_sel_hi:[1,0,0]
	v_pk_add_f32 v[116:117], v[122:123], v[116:117]
	v_pk_mul_f32 v[122:123], v[18:19], s[14:15] op_sel_hi:[1,0]
	v_pk_fma_f32 v[20:21], v[32:33], s[0:1], v[20:21] op_sel:[0,0,1] op_sel_hi:[1,0,0] neg_lo:[0,0,1] neg_hi:[0,0,1]
	v_pk_fma_f32 v[124:125], v[38:39], s[0:1], v[122:123] op_sel:[0,0,1] op_sel_hi:[1,0,0]
	v_pk_fma_f32 v[122:123], v[38:39], s[0:1], v[122:123] op_sel:[0,0,1] op_sel_hi:[1,0,0] neg_lo:[0,0,1] neg_hi:[0,0,1]
	v_mov_b32_e32 v126, v124
	v_mov_b32_e32 v127, v123
	v_pk_add_f32 v[116:117], v[126:127], v[116:117]
	v_pk_mul_f32 v[126:127], v[10:11], s[22:23] op_sel_hi:[1,0]
	v_mov_b32_e32 v32, v136
	v_pk_fma_f32 v[128:129], v[42:43], s[20:21], v[126:127] op_sel:[0,0,1] op_sel_hi:[1,0,0]
	v_pk_fma_f32 v[126:127], v[42:43], s[20:21], v[126:127] op_sel:[0,0,1] op_sel_hi:[1,0,0] neg_lo:[0,0,1] neg_hi:[0,0,1]
	v_mov_b32_e32 v130, v128
	v_mov_b32_e32 v131, v127
	v_pk_add_f32 v[116:117], v[130:131], v[116:117]
	v_pk_mul_f32 v[130:131], v[12:13], s[26:27] op_sel_hi:[1,0]
	v_mov_b32_e32 v33, v21
	v_pk_fma_f32 v[132:133], v[48:49], s[8:9], v[130:131] op_sel:[0,0,1] op_sel_hi:[1,0,0]
	v_pk_fma_f32 v[130:131], v[48:49], s[8:9], v[130:131] op_sel:[0,0,1] op_sel_hi:[1,0,0] neg_lo:[0,0,1] neg_hi:[0,0,1]
	v_mov_b32_e32 v134, v132
	v_mov_b32_e32 v135, v131
	v_pk_add_f32 v[116:117], v[134:135], v[116:117]
	v_pk_fma_f32 v[134:135], v[8:9], s[20:21], v[22:23] op_sel:[0,0,1] op_sel_hi:[1,0,0]
	v_pk_fma_f32 v[8:9], v[8:9], s[20:21], v[22:23] op_sel:[0,0,1] op_sel_hi:[1,0,0] neg_lo:[0,0,1] neg_hi:[0,0,1]
	v_mov_b32_e32 v22, v134
	v_mov_b32_e32 v23, v9
	v_pk_add_f32 v[22:23], v[0:1], v[22:23]
	v_pk_mul_f32 v[18:19], v[18:19], s[18:19] op_sel_hi:[1,0]
	v_pk_add_f32 v[22:23], v[32:33], v[22:23]
	v_pk_fma_f32 v[32:33], v[38:39], s[16:17], v[18:19] op_sel:[0,0,1] op_sel_hi:[1,0,0]
	v_pk_fma_f32 v[18:19], v[38:39], s[16:17], v[18:19] op_sel:[0,0,1] op_sel_hi:[1,0,0] neg_lo:[0,0,1] neg_hi:[0,0,1]
	v_mov_b32_e32 v9, v135
	v_mov_b32_e32 v38, v32
	;; [unrolled: 1-line block ×3, first 2 shown]
	v_pk_mul_f32 v[10:11], v[10:11], s[26:27] op_sel_hi:[1,0]
	v_pk_add_f32 v[8:9], v[0:1], v[8:9]
	v_mov_b32_e32 v21, v137
	v_pk_add_f32 v[22:23], v[38:39], v[22:23]
	v_pk_fma_f32 v[38:39], v[42:43], s[8:9], v[10:11] op_sel:[0,0,1] op_sel_hi:[1,0,0]
	v_pk_fma_f32 v[10:11], v[42:43], s[8:9], v[10:11] op_sel:[0,0,1] op_sel_hi:[1,0,0] neg_lo:[0,0,1] neg_hi:[0,0,1]
	v_pk_add_f32 v[8:9], v[20:21], v[8:9]
	v_mov_b32_e32 v19, v33
	v_mov_b32_e32 v43, v11
	v_pk_add_f32 v[8:9], v[18:19], v[8:9]
	v_mov_b32_e32 v11, v39
	v_mov_b32_e32 v53, v99
	v_pk_add_f32 v[8:9], v[10:11], v[8:9]
	v_pk_add_f32 v[10:11], v[0:1], v[52:53]
	v_mov_b32_e32 v119, v121
	v_mov_b32_e32 v42, v38
	v_pk_mul_f32 v[12:13], v[12:13], s[12:13] op_sel_hi:[1,0]
	v_pk_add_f32 v[10:11], v[118:119], v[10:11]
	v_mov_b32_e32 v123, v125
	v_pk_add_f32 v[22:23], v[42:43], v[22:23]
	v_pk_fma_f32 v[42:43], v[48:49], s[10:11], v[12:13] op_sel:[0,0,1] op_sel_hi:[1,0,0]
	v_pk_fma_f32 v[12:13], v[48:49], s[10:11], v[12:13] op_sel:[0,0,1] op_sel_hi:[1,0,0] neg_lo:[0,0,1] neg_hi:[0,0,1]
	v_pk_add_f32 v[10:11], v[122:123], v[10:11]
	v_mov_b32_e32 v127, v129
	v_mov_b32_e32 v49, v13
	;; [unrolled: 1-line block ×3, first 2 shown]
	v_pk_add_f32 v[10:11], v[126:127], v[10:11]
	v_mov_b32_e32 v131, v133
	v_pk_add_f32 v[8:9], v[12:13], v[8:9]
	v_pk_add_f32 v[10:11], v[130:131], v[10:11]
	v_mov_b32_e32 v95, v97
	v_mov_b32_e32 v3, v31
	;; [unrolled: 1-line block ×3, first 2 shown]
	ds_write2_b64 v44, v[8:9], v[10:11] offset0:8 offset1:52
	v_pk_add_f32 v[8:9], v[0:1], v[94:95]
	v_mov_b32_e32 v101, v103
	v_pk_add_f32 v[2:3], v[0:1], v[2:3]
	v_mov_b32_e32 v55, v57
	;; [unrolled: 2-line block ×9, first 2 shown]
	v_mov_b32_e32 v48, v42
	v_pk_add_f32 v[8:9], v[108:109], v[8:9]
	v_mov_b32_e32 v113, v115
	v_pk_add_f32 v[2:3], v[62:63], v[2:3]
	;; [unrolled: 2-line block ×4, first 2 shown]
	v_pk_add_f32 v[8:9], v[112:113], v[8:9]
	v_pk_add_f32 v[2:3], v[90:91], v[2:3]
	;; [unrolled: 1-line block ×3, first 2 shown]
	ds_write2_b64 v64, v[116:117], v[22:23] offset0:176 offset1:220
	ds_write2_b64 v44, v[8:9], v[2:3] offset0:96 offset1:140
	ds_write_b64 v64, v[0:1] offset:3520
	s_waitcnt lgkmcnt(0)
	; wave barrier
	s_waitcnt lgkmcnt(0)
	ds_read2_b64 v[0:3], v64 offset1:44
	v_mov_b32_e32 v8, v7
	v_mad_u64_u32 v[8:9], s[0:1], s7, v78, v[8:9]
	v_mov_b32_e32 v7, v8
	s_waitcnt lgkmcnt(0)
	v_mul_f32_e32 v8, v87, v1
	v_fmac_f32_e32 v8, v86, v0
	v_mul_f32_e32 v0, v87, v0
	s_mov_b32 s0, 0x6be69c90
	v_fma_f32 v0, v86, v1, -v0
	s_mov_b32 s1, 0x3f60ecf5
	v_cvt_f64_f32_e32 v[0:1], v0
	v_cvt_f64_f32_e32 v[8:9], v8
	v_mul_f64 v[0:1], v[0:1], s[0:1]
	v_mul_f64 v[8:9], v[8:9], s[0:1]
	v_cvt_f32_f64_e32 v13, v[0:1]
	v_mad_u64_u32 v[0:1], s[2:3], s4, v68, 0
	v_cvt_f32_f64_e32 v12, v[8:9]
	v_mov_b32_e32 v8, v1
	v_mad_u64_u32 v[14:15], s[2:3], s5, v68, v[8:9]
	ds_read2_b64 v[8:11], v64 offset0:121 offset1:165
	v_mov_b32_e32 v1, v14
	v_lshl_add_u64 v[4:5], v[6:7], 3, v[4:5]
	v_lshl_add_u64 v[0:1], v[0:1], 3, v[4:5]
	global_store_dwordx2 v[0:1], v[12:13], off
	s_waitcnt lgkmcnt(0)
	v_mul_f32_e32 v4, v85, v9
	v_fmac_f32_e32 v4, v84, v8
	v_cvt_f64_f32_e32 v[4:5], v4
	v_mul_f64 v[4:5], v[4:5], s[0:1]
	v_cvt_f32_f64_e32 v12, v[4:5]
	v_mul_f32_e32 v4, v85, v8
	v_fma_f32 v4, v84, v9, -v4
	v_cvt_f64_f32_e32 v[4:5], v4
	v_mul_f64 v[4:5], v[4:5], s[0:1]
	v_cvt_f32_f64_e32 v13, v[4:5]
	v_add_u32_e32 v4, 0x400, v64
	ds_read2_b64 v[4:7], v4 offset0:114 offset1:158
	s_mul_i32 s2, s5, 0x79
	s_mul_hi_u32 s3, s4, 0x79
	s_add_i32 s3, s3, s2
	s_mul_i32 s2, s4, 0x79
	s_lshl_b64 s[2:3], s[2:3], 3
	v_lshl_add_u64 v[0:1], v[0:1], 0, s[2:3]
	global_store_dwordx2 v[0:1], v[12:13], off
	s_waitcnt lgkmcnt(0)
	v_mul_f32_e32 v8, v81, v5
	ds_read2_b64 v[12:15], v44 offset0:107 offset1:151
	v_fmac_f32_e32 v8, v80, v4
	v_mul_f32_e32 v4, v81, v4
	v_fma_f32 v4, v80, v5, -v4
	v_cvt_f64_f32_e32 v[8:9], v8
	v_cvt_f64_f32_e32 v[4:5], v4
	v_mul_f64 v[8:9], v[8:9], s[0:1]
	v_mul_f64 v[4:5], v[4:5], s[0:1]
	v_cvt_f32_f64_e32 v8, v[8:9]
	v_cvt_f32_f64_e32 v9, v[4:5]
	s_waitcnt lgkmcnt(0)
	v_mul_f32_e32 v4, v75, v13
	v_fmac_f32_e32 v4, v74, v12
	v_cvt_f64_f32_e32 v[4:5], v4
	v_mul_f64 v[4:5], v[4:5], s[0:1]
	v_cvt_f32_f64_e32 v4, v[4:5]
	v_mul_f32_e32 v5, v75, v12
	v_lshl_add_u64 v[0:1], v[0:1], 0, s[2:3]
	v_fma_f32 v5, v74, v13, -v5
	global_store_dwordx2 v[0:1], v[8:9], off
	v_cvt_f64_f32_e32 v[8:9], v5
	v_mul_f64 v[8:9], v[8:9], s[0:1]
	v_cvt_f32_f64_e32 v5, v[8:9]
	v_lshl_add_u64 v[0:1], v[0:1], 0, s[2:3]
	global_store_dwordx2 v[0:1], v[4:5], off
	v_mul_f32_e32 v4, v83, v3
	v_fmac_f32_e32 v4, v82, v2
	v_mul_f32_e32 v2, v83, v2
	v_fma_f32 v2, v82, v3, -v2
	v_cvt_f64_f32_e32 v[4:5], v4
	v_cvt_f64_f32_e32 v[2:3], v2
	v_mul_f64 v[4:5], v[4:5], s[0:1]
	v_mul_f64 v[2:3], v[2:3], s[0:1]
	v_cvt_f32_f64_e32 v4, v[4:5]
	v_cvt_f32_f64_e32 v5, v[2:3]
	v_mul_f32_e32 v2, v73, v11
	v_fmac_f32_e32 v2, v72, v10
	v_cvt_f64_f32_e32 v[2:3], v2
	s_mulk_i32 s5, 0xfec1
	v_mul_f64 v[2:3], v[2:3], s[0:1]
	s_add_i32 s5, s6, s5
	s_mulk_i32 s4, 0xfec1
	v_cvt_f32_f64_e32 v2, v[2:3]
	v_mul_f32_e32 v3, v73, v10
	v_lshl_add_u64 v[0:1], s[4:5], 3, v[0:1]
	v_fma_f32 v3, v72, v11, -v3
	global_store_dwordx2 v[0:1], v[4:5], off
	v_cvt_f64_f32_e32 v[4:5], v3
	v_mul_f64 v[4:5], v[4:5], s[0:1]
	v_cvt_f32_f64_e32 v3, v[4:5]
	v_lshl_add_u64 v[0:1], v[0:1], 0, s[2:3]
	global_store_dwordx2 v[0:1], v[2:3], off
	v_mul_f32_e32 v2, v77, v7
	v_fmac_f32_e32 v2, v76, v6
	v_cvt_f64_f32_e32 v[2:3], v2
	v_mul_f64 v[2:3], v[2:3], s[0:1]
	v_cvt_f32_f64_e32 v2, v[2:3]
	v_mul_f32_e32 v3, v77, v6
	v_fma_f32 v3, v76, v7, -v3
	v_cvt_f64_f32_e32 v[4:5], v3
	v_mul_f64 v[4:5], v[4:5], s[0:1]
	v_cvt_f32_f64_e32 v3, v[4:5]
	v_lshl_add_u64 v[0:1], v[0:1], 0, s[2:3]
	global_store_dwordx2 v[0:1], v[2:3], off
	v_mul_f32_e32 v2, v71, v15
	v_fmac_f32_e32 v2, v70, v14
	v_cvt_f64_f32_e32 v[2:3], v2
	v_mul_f64 v[2:3], v[2:3], s[0:1]
	v_cvt_f32_f64_e32 v2, v[2:3]
	v_mul_f32_e32 v3, v71, v14
	v_fma_f32 v3, v70, v15, -v3
	v_cvt_f64_f32_e32 v[4:5], v3
	v_mul_f64 v[4:5], v[4:5], s[0:1]
	v_cvt_f32_f64_e32 v3, v[4:5]
	v_lshl_add_u64 v[0:1], v[0:1], 0, s[2:3]
	global_store_dwordx2 v[0:1], v[2:3], off
	s_and_b64 exec, exec, vcc
	s_cbranch_execz .LBB0_15
; %bb.14:
	global_load_dwordx2 v[10:11], v[66:67], off offset:704
	global_load_dwordx2 v[12:13], v[66:67], off offset:1672
	;; [unrolled: 1-line block ×4, first 2 shown]
	ds_read2_b64 v[2:5], v64 offset0:88 offset1:209
	ds_read2_b64 v[6:9], v44 offset0:74 offset1:195
	v_lshl_add_u64 v[0:1], s[4:5], 3, v[0:1]
	v_lshl_add_u64 v[18:19], v[0:1], 0, s[2:3]
	;; [unrolled: 1-line block ×4, first 2 shown]
	s_waitcnt vmcnt(3) lgkmcnt(1)
	v_mul_f32_e32 v24, v3, v11
	v_mul_f32_e32 v11, v2, v11
	s_waitcnt vmcnt(2)
	v_mul_f32_e32 v25, v5, v13
	v_mul_f32_e32 v13, v4, v13
	s_waitcnt vmcnt(1) lgkmcnt(0)
	v_mul_f32_e32 v26, v7, v15
	v_mul_f32_e32 v15, v6, v15
	s_waitcnt vmcnt(0)
	v_mul_f32_e32 v27, v9, v17
	v_mul_f32_e32 v17, v8, v17
	v_fmac_f32_e32 v24, v2, v10
	v_fma_f32 v10, v10, v3, -v11
	v_fmac_f32_e32 v25, v4, v12
	v_fma_f32 v11, v12, v5, -v13
	;; [unrolled: 2-line block ×4, first 2 shown]
	v_cvt_f64_f32_e32 v[2:3], v24
	v_cvt_f64_f32_e32 v[4:5], v10
	;; [unrolled: 1-line block ×8, first 2 shown]
	v_mul_f64 v[2:3], v[2:3], s[0:1]
	v_mul_f64 v[4:5], v[4:5], s[0:1]
	;; [unrolled: 1-line block ×8, first 2 shown]
	v_cvt_f32_f64_e32 v2, v[2:3]
	v_cvt_f32_f64_e32 v3, v[4:5]
	;; [unrolled: 1-line block ×8, first 2 shown]
	global_store_dwordx2 v[0:1], v[2:3], off
	global_store_dwordx2 v[18:19], v[4:5], off
	global_store_dwordx2 v[20:21], v[6:7], off
	global_store_dwordx2 v[22:23], v[8:9], off
.LBB0_15:
	s_endpgm
	.section	.rodata,"a",@progbits
	.p2align	6, 0x0
	.amdhsa_kernel bluestein_single_back_len484_dim1_sp_op_CI_CI
		.amdhsa_group_segment_fixed_size 3872
		.amdhsa_private_segment_fixed_size 0
		.amdhsa_kernarg_size 104
		.amdhsa_user_sgpr_count 2
		.amdhsa_user_sgpr_dispatch_ptr 0
		.amdhsa_user_sgpr_queue_ptr 0
		.amdhsa_user_sgpr_kernarg_segment_ptr 1
		.amdhsa_user_sgpr_dispatch_id 0
		.amdhsa_user_sgpr_kernarg_preload_length 0
		.amdhsa_user_sgpr_kernarg_preload_offset 0
		.amdhsa_user_sgpr_private_segment_size 0
		.amdhsa_uses_dynamic_stack 0
		.amdhsa_enable_private_segment 0
		.amdhsa_system_sgpr_workgroup_id_x 1
		.amdhsa_system_sgpr_workgroup_id_y 0
		.amdhsa_system_sgpr_workgroup_id_z 0
		.amdhsa_system_sgpr_workgroup_info 0
		.amdhsa_system_vgpr_workitem_id 0
		.amdhsa_next_free_vgpr 172
		.amdhsa_next_free_sgpr 48
		.amdhsa_accum_offset 172
		.amdhsa_reserve_vcc 1
		.amdhsa_float_round_mode_32 0
		.amdhsa_float_round_mode_16_64 0
		.amdhsa_float_denorm_mode_32 3
		.amdhsa_float_denorm_mode_16_64 3
		.amdhsa_dx10_clamp 1
		.amdhsa_ieee_mode 1
		.amdhsa_fp16_overflow 0
		.amdhsa_tg_split 0
		.amdhsa_exception_fp_ieee_invalid_op 0
		.amdhsa_exception_fp_denorm_src 0
		.amdhsa_exception_fp_ieee_div_zero 0
		.amdhsa_exception_fp_ieee_overflow 0
		.amdhsa_exception_fp_ieee_underflow 0
		.amdhsa_exception_fp_ieee_inexact 0
		.amdhsa_exception_int_div_zero 0
	.end_amdhsa_kernel
	.text
.Lfunc_end0:
	.size	bluestein_single_back_len484_dim1_sp_op_CI_CI, .Lfunc_end0-bluestein_single_back_len484_dim1_sp_op_CI_CI
                                        ; -- End function
	.section	.AMDGPU.csdata,"",@progbits
; Kernel info:
; codeLenInByte = 12080
; NumSgprs: 54
; NumVgprs: 172
; NumAgprs: 0
; TotalNumVgprs: 172
; ScratchSize: 0
; MemoryBound: 0
; FloatMode: 240
; IeeeMode: 1
; LDSByteSize: 3872 bytes/workgroup (compile time only)
; SGPRBlocks: 6
; VGPRBlocks: 21
; NumSGPRsForWavesPerEU: 54
; NumVGPRsForWavesPerEU: 172
; AccumOffset: 172
; Occupancy: 2
; WaveLimiterHint : 1
; COMPUTE_PGM_RSRC2:SCRATCH_EN: 0
; COMPUTE_PGM_RSRC2:USER_SGPR: 2
; COMPUTE_PGM_RSRC2:TRAP_HANDLER: 0
; COMPUTE_PGM_RSRC2:TGID_X_EN: 1
; COMPUTE_PGM_RSRC2:TGID_Y_EN: 0
; COMPUTE_PGM_RSRC2:TGID_Z_EN: 0
; COMPUTE_PGM_RSRC2:TIDIG_COMP_CNT: 0
; COMPUTE_PGM_RSRC3_GFX90A:ACCUM_OFFSET: 42
; COMPUTE_PGM_RSRC3_GFX90A:TG_SPLIT: 0
	.text
	.p2alignl 6, 3212836864
	.fill 256, 4, 3212836864
	.type	__hip_cuid_c8e841fb0fe68aca,@object ; @__hip_cuid_c8e841fb0fe68aca
	.section	.bss,"aw",@nobits
	.globl	__hip_cuid_c8e841fb0fe68aca
__hip_cuid_c8e841fb0fe68aca:
	.byte	0                               ; 0x0
	.size	__hip_cuid_c8e841fb0fe68aca, 1

	.ident	"AMD clang version 19.0.0git (https://github.com/RadeonOpenCompute/llvm-project roc-6.4.0 25133 c7fe45cf4b819c5991fe208aaa96edf142730f1d)"
	.section	".note.GNU-stack","",@progbits
	.addrsig
	.addrsig_sym __hip_cuid_c8e841fb0fe68aca
	.amdgpu_metadata
---
amdhsa.kernels:
  - .agpr_count:     0
    .args:
      - .actual_access:  read_only
        .address_space:  global
        .offset:         0
        .size:           8
        .value_kind:     global_buffer
      - .actual_access:  read_only
        .address_space:  global
        .offset:         8
        .size:           8
        .value_kind:     global_buffer
      - .actual_access:  read_only
        .address_space:  global
        .offset:         16
        .size:           8
        .value_kind:     global_buffer
      - .actual_access:  read_only
        .address_space:  global
        .offset:         24
        .size:           8
        .value_kind:     global_buffer
      - .actual_access:  read_only
        .address_space:  global
        .offset:         32
        .size:           8
        .value_kind:     global_buffer
      - .offset:         40
        .size:           8
        .value_kind:     by_value
      - .address_space:  global
        .offset:         48
        .size:           8
        .value_kind:     global_buffer
      - .address_space:  global
        .offset:         56
        .size:           8
        .value_kind:     global_buffer
      - .address_space:  global
        .offset:         64
        .size:           8
        .value_kind:     global_buffer
      - .address_space:  global
        .offset:         72
        .size:           8
        .value_kind:     global_buffer
      - .offset:         80
        .size:           4
        .value_kind:     by_value
      - .address_space:  global
        .offset:         88
        .size:           8
        .value_kind:     global_buffer
      - .address_space:  global
        .offset:         96
        .size:           8
        .value_kind:     global_buffer
    .group_segment_fixed_size: 3872
    .kernarg_segment_align: 8
    .kernarg_segment_size: 104
    .language:       OpenCL C
    .language_version:
      - 2
      - 0
    .max_flat_workgroup_size: 44
    .name:           bluestein_single_back_len484_dim1_sp_op_CI_CI
    .private_segment_fixed_size: 0
    .sgpr_count:     54
    .sgpr_spill_count: 0
    .symbol:         bluestein_single_back_len484_dim1_sp_op_CI_CI.kd
    .uniform_work_group_size: 1
    .uses_dynamic_stack: false
    .vgpr_count:     172
    .vgpr_spill_count: 0
    .wavefront_size: 64
amdhsa.target:   amdgcn-amd-amdhsa--gfx950
amdhsa.version:
  - 1
  - 2
...

	.end_amdgpu_metadata
